;; amdgpu-corpus repo=ROCm/rocFFT kind=compiled arch=gfx906 opt=O3
	.text
	.amdgcn_target "amdgcn-amd-amdhsa--gfx906"
	.amdhsa_code_object_version 6
	.protected	bluestein_single_fwd_len1445_dim1_half_op_CI_CI ; -- Begin function bluestein_single_fwd_len1445_dim1_half_op_CI_CI
	.globl	bluestein_single_fwd_len1445_dim1_half_op_CI_CI
	.p2align	8
	.type	bluestein_single_fwd_len1445_dim1_half_op_CI_CI,@function
bluestein_single_fwd_len1445_dim1_half_op_CI_CI: ; @bluestein_single_fwd_len1445_dim1_half_op_CI_CI
; %bb.0:
	s_load_dwordx4 s[16:19], s[4:5], 0x28
	v_mul_u32_u24_e32 v1, 0x304, v0
	v_add_u32_sdwa v32, s6, v1 dst_sel:DWORD dst_unused:UNUSED_PAD src0_sel:DWORD src1_sel:WORD_1
	v_mov_b32_e32 v33, 0
	s_waitcnt lgkmcnt(0)
	v_cmp_gt_u64_e32 vcc, s[16:17], v[32:33]
	s_and_saveexec_b64 s[0:1], vcc
	s_cbranch_execz .LBB0_10
; %bb.1:
	s_load_dwordx4 s[0:3], s[4:5], 0x18
	s_load_dwordx4 s[12:15], s[4:5], 0x0
	s_mov_b32 s26, 0xb5c8
	s_mov_b32 s25, 0xffff
	;; [unrolled: 1-line block ×3, first 2 shown]
	s_waitcnt lgkmcnt(0)
	s_load_dwordx4 s[8:11], s[0:1], 0x0
	s_movk_i32 s0, 0x55
	v_mul_lo_u16_sdwa v1, v1, s0 dst_sel:DWORD dst_unused:UNUSED_PAD src0_sel:WORD_1 src1_sel:DWORD
	v_sub_u16_e32 v63, v0, v1
	v_lshlrev_b32_e32 v47, 2, v63
	s_waitcnt lgkmcnt(0)
	v_mad_u64_u32 v[0:1], s[0:1], s10, v32, 0
	v_mad_u64_u32 v[2:3], s[0:1], s8, v63, 0
	s_mul_hi_u32 s16, s8, 0x154
	s_mul_i32 s17, s8, 0x154
	v_mad_u64_u32 v[4:5], s[0:1], s11, v32, v[1:2]
	v_mov_b32_e32 v7, s13
	s_mov_b32 s27, 0xbbf7
	v_mad_u64_u32 v[5:6], s[0:1], s9, v63, v[3:4]
	v_mov_b32_e32 v1, v4
	v_lshlrev_b64 v[0:1], 2, v[0:1]
	v_mov_b32_e32 v6, s19
	v_mov_b32_e32 v3, v5
	v_add_co_u32_e32 v4, vcc, s18, v0
	v_addc_co_u32_e32 v5, vcc, v6, v1, vcc
	v_lshlrev_b64 v[0:1], 2, v[2:3]
	s_mul_i32 s0, s9, 0x154
	v_add_co_u32_e32 v0, vcc, v4, v0
	v_addc_co_u32_e32 v1, vcc, v5, v1, vcc
	s_add_i32 s16, s16, s0
	v_mov_b32_e32 v3, s16
	v_add_co_u32_e32 v2, vcc, s17, v0
	v_addc_co_u32_e32 v3, vcc, v1, v3, vcc
	global_load_dword v4, v[0:1], off
	global_load_dword v5, v[2:3], off
	global_load_dword v65, v47, s[12:13]
	global_load_dword v64, v47, s[12:13] offset:340
	v_mov_b32_e32 v1, s16
	v_add_co_u32_e32 v0, vcc, s17, v2
	v_addc_co_u32_e32 v1, vcc, v3, v1, vcc
	global_load_dword v2, v[0:1], off
	global_load_dword v62, v47, s[12:13] offset:680
	v_mov_b32_e32 v3, s16
	v_add_co_u32_e32 v0, vcc, s17, v0
	v_addc_co_u32_e32 v1, vcc, v1, v3, vcc
	global_load_dword v3, v[0:1], off
	global_load_dword v61, v47, s[12:13] offset:1020
	v_mov_b32_e32 v6, s16
	v_add_co_u32_e32 v0, vcc, s17, v0
	v_addc_co_u32_e32 v1, vcc, v1, v6, vcc
	global_load_dword v6, v[0:1], off
	global_load_dword v60, v47, s[12:13] offset:1360
	v_add_co_u32_e32 v33, vcc, s12, v47
	v_addc_co_u32_e64 v7, s[0:1], 0, v7, vcc
	v_mov_b32_e32 v8, s16
	v_add_co_u32_e64 v0, s[0:1], s17, v0
	v_addc_co_u32_e64 v1, s[0:1], v1, v8, s[0:1]
	s_load_dwordx2 s[6:7], s[4:5], 0x38
	s_load_dwordx4 s[8:11], s[2:3], 0x0
	global_load_dword v59, v47, s[12:13] offset:1700
	global_load_dword v58, v47, s[12:13] offset:2040
	;; [unrolled: 1-line block ×3, first 2 shown]
	global_load_dword v8, v[0:1], off
	v_mov_b32_e32 v9, s16
	v_add_co_u32_e64 v0, s[0:1], s17, v0
	v_addc_co_u32_e64 v1, s[0:1], v1, v9, s[0:1]
	v_mov_b32_e32 v16, s16
	s_movk_i32 s3, 0x39e9
	s_movk_i32 s2, 0x2de8
	s_mov_b32 s4, 0xbbb2
	s_mov_b32 s5, 0xb461
	;; [unrolled: 1-line block ×7, first 2 shown]
	s_movk_i32 s23, 0x3bb2
	s_mov_b32 s22, 0x3722b8d2
	s_mov_b32 s29, 0x2de8bbdd
	;; [unrolled: 1-line block ×3, first 2 shown]
	s_waitcnt vmcnt(13)
	v_lshrrev_b32_e32 v10, 16, v4
	s_waitcnt vmcnt(11)
	v_mul_f16_sdwa v11, v65, v4 dst_sel:DWORD dst_unused:UNUSED_PAD src0_sel:WORD_1 src1_sel:DWORD
	v_mul_f16_sdwa v12, v65, v10 dst_sel:DWORD dst_unused:UNUSED_PAD src0_sel:WORD_1 src1_sel:DWORD
	v_fma_f16 v10, v65, v10, -v11
	v_lshrrev_b32_e32 v11, 16, v5
	s_waitcnt vmcnt(10)
	v_mul_f16_sdwa v13, v64, v5 dst_sel:DWORD dst_unused:UNUSED_PAD src0_sel:WORD_1 src1_sel:DWORD
	v_fma_f16 v4, v65, v4, v12
	v_mul_f16_sdwa v12, v64, v11 dst_sel:DWORD dst_unused:UNUSED_PAD src0_sel:WORD_1 src1_sel:DWORD
	v_fma_f16 v11, v64, v11, -v13
	s_waitcnt vmcnt(9)
	v_lshrrev_b32_e32 v13, 16, v2
	s_waitcnt vmcnt(8)
	v_mul_f16_sdwa v14, v62, v2 dst_sel:DWORD dst_unused:UNUSED_PAD src0_sel:WORD_1 src1_sel:DWORD
	v_pack_b32_f16 v4, v4, v10
	v_fma_f16 v5, v64, v5, v12
	v_mul_f16_sdwa v10, v62, v13 dst_sel:DWORD dst_unused:UNUSED_PAD src0_sel:WORD_1 src1_sel:DWORD
	v_fma_f16 v12, v62, v13, -v14
	s_waitcnt vmcnt(7)
	v_lshrrev_b32_e32 v13, 16, v3
	s_waitcnt vmcnt(6)
	v_mul_f16_sdwa v14, v61, v3 dst_sel:DWORD dst_unused:UNUSED_PAD src0_sel:WORD_1 src1_sel:DWORD
	v_pack_b32_f16 v5, v5, v11
	v_fma_f16 v2, v62, v2, v10
	v_mul_f16_sdwa v10, v61, v13 dst_sel:DWORD dst_unused:UNUSED_PAD src0_sel:WORD_1 src1_sel:DWORD
	v_fma_f16 v11, v61, v13, -v14
	s_waitcnt vmcnt(5)
	v_lshrrev_b32_e32 v13, 16, v6
	ds_write2_b32 v47, v4, v5 offset1:85
	v_fma_f16 v3, v61, v3, v10
	s_waitcnt vmcnt(4)
	v_mul_f16_sdwa v4, v60, v13 dst_sel:DWORD dst_unused:UNUSED_PAD src0_sel:WORD_1 src1_sel:DWORD
	v_mul_f16_sdwa v14, v60, v6 dst_sel:DWORD dst_unused:UNUSED_PAD src0_sel:WORD_1 src1_sel:DWORD
	v_pack_b32_f16 v2, v2, v12
	v_pack_b32_f16 v3, v3, v11
	v_fma_f16 v4, v60, v6, v4
	global_load_dword v6, v[0:1], off
	ds_write2_b32 v47, v2, v3 offset0:170 offset1:255
	v_mov_b32_e32 v2, s16
	v_add_co_u32_e64 v0, s[0:1], s17, v0
	v_addc_co_u32_e64 v1, s[0:1], v1, v2, s[0:1]
	global_load_dword v9, v[0:1], off
	v_add_co_u32_e64 v0, s[0:1], s17, v0
	v_addc_co_u32_e64 v1, s[0:1], v1, v2, s[0:1]
	global_load_dword v10, v[0:1], off
	global_load_dword v56, v47, s[12:13] offset:2720
	v_add_co_u32_e64 v0, s[0:1], s17, v0
	v_addc_co_u32_e64 v1, s[0:1], v1, v2, s[0:1]
	global_load_dword v11, v[0:1], off
	v_add_co_u32_e64 v0, s[0:1], s17, v0
	v_addc_co_u32_e64 v1, s[0:1], v1, v2, s[0:1]
	global_load_dword v55, v47, s[12:13] offset:3060
	global_load_dword v12, v[0:1], off
	global_load_dword v54, v47, s[12:13] offset:3400
	v_add_co_u32_e64 v0, s[0:1], s17, v0
	v_addc_co_u32_e64 v1, s[0:1], v1, v2, s[0:1]
	v_fma_f16 v5, v60, v13, -v14
	global_load_dword v13, v[0:1], off
	v_add_co_u32_e64 v0, s[0:1], s17, v0
	v_addc_co_u32_e64 v1, s[0:1], v1, v2, s[0:1]
	global_load_dword v53, v47, s[12:13] offset:3740
	global_load_dword v14, v[0:1], off
	global_load_dword v52, v47, s[12:13] offset:4080
	v_add_co_u32_e64 v0, s[0:1], s17, v0
	v_addc_co_u32_e64 v1, s[0:1], v1, v2, s[0:1]
	s_movk_i32 s0, 0x1000
	v_add_co_u32_e64 v2, s[0:1], s0, v33
	global_load_dword v15, v[0:1], off
	v_addc_co_u32_e64 v3, s[0:1], 0, v7, s[0:1]
	global_load_dword v51, v[2:3], off offset:324
	v_mov_b32_e32 v7, s16
	v_add_co_u32_e64 v0, s[0:1], s17, v0
	v_addc_co_u32_e64 v1, s[0:1], v1, v7, s[0:1]
	global_load_dword v7, v[0:1], off
	global_load_dword v50, v[2:3], off offset:664
	v_add_co_u32_e64 v0, s[0:1], s17, v0
	v_addc_co_u32_e64 v1, s[0:1], v1, v16, s[0:1]
	global_load_dword v16, v[0:1], off
	global_load_dword v49, v[2:3], off offset:1004
	v_pack_b32_f16 v4, v4, v5
	v_mov_b32_e32 v5, s16
	v_add_co_u32_e64 v0, s[0:1], s17, v0
	v_addc_co_u32_e64 v1, s[0:1], v1, v5, s[0:1]
	global_load_dword v5, v[0:1], off
	global_load_dword v48, v[2:3], off offset:1344
	s_waitcnt vmcnt(20)
	v_lshrrev_b32_e32 v0, 16, v8
	v_mul_f16_sdwa v1, v59, v0 dst_sel:DWORD dst_unused:UNUSED_PAD src0_sel:WORD_1 src1_sel:DWORD
	v_mul_f16_sdwa v2, v59, v8 dst_sel:DWORD dst_unused:UNUSED_PAD src0_sel:WORD_1 src1_sel:DWORD
	v_fma_f16 v1, v59, v8, v1
	v_fma_f16 v0, v59, v0, -v2
	v_pack_b32_f16 v0, v1, v0
	v_add_u32_e32 v8, 0x400, v47
	ds_write2_b32 v8, v4, v0 offset0:84 offset1:169
	s_movk_i32 s0, 0x3b76
	s_mov_b32 s1, 0x3b7639e9
	s_mov_b32 s12, 0xba62
	;; [unrolled: 1-line block ×4, first 2 shown]
	s_waitcnt vmcnt(19)
	v_lshrrev_b32_e32 v0, 16, v6
	v_mul_f16_sdwa v1, v58, v0 dst_sel:DWORD dst_unused:UNUSED_PAD src0_sel:WORD_1 src1_sel:DWORD
	v_mul_f16_sdwa v2, v58, v6 dst_sel:DWORD dst_unused:UNUSED_PAD src0_sel:WORD_1 src1_sel:DWORD
	v_fma_f16 v1, v58, v6, v1
	v_fma_f16 v0, v58, v0, -v2
	v_pack_b32_f16 v0, v1, v0
	v_add_u32_e32 v6, 0xc00, v47
	s_waitcnt vmcnt(18)
	v_lshrrev_b32_e32 v1, 16, v9
	v_mul_f16_sdwa v2, v57, v1 dst_sel:DWORD dst_unused:UNUSED_PAD src0_sel:WORD_1 src1_sel:DWORD
	v_mul_f16_sdwa v3, v57, v9 dst_sel:DWORD dst_unused:UNUSED_PAD src0_sel:WORD_1 src1_sel:DWORD
	v_fma_f16 v2, v57, v9, v2
	v_fma_f16 v1, v57, v1, -v3
	v_pack_b32_f16 v1, v2, v1
	v_add_u32_e32 v2, 0x600, v47
	ds_write2_b32 v2, v0, v1 offset0:126 offset1:211
	s_waitcnt vmcnt(17)
	v_lshrrev_b32_e32 v0, 16, v10
	s_waitcnt vmcnt(16)
	v_mul_f16_sdwa v1, v56, v0 dst_sel:DWORD dst_unused:UNUSED_PAD src0_sel:WORD_1 src1_sel:DWORD
	v_mul_f16_sdwa v3, v56, v10 dst_sel:DWORD dst_unused:UNUSED_PAD src0_sel:WORD_1 src1_sel:DWORD
	v_fma_f16 v1, v56, v10, v1
	v_fma_f16 v0, v56, v0, -v3
	v_pack_b32_f16 v0, v1, v0
	s_waitcnt vmcnt(15)
	v_lshrrev_b32_e32 v1, 16, v11
	s_waitcnt vmcnt(14)
	v_mul_f16_sdwa v3, v55, v1 dst_sel:DWORD dst_unused:UNUSED_PAD src0_sel:WORD_1 src1_sel:DWORD
	v_mul_f16_sdwa v4, v55, v11 dst_sel:DWORD dst_unused:UNUSED_PAD src0_sel:WORD_1 src1_sel:DWORD
	v_fma_f16 v3, v55, v11, v3
	v_fma_f16 v1, v55, v1, -v4
	v_pack_b32_f16 v1, v3, v1
	v_add_u32_e32 v9, 0x800, v47
	ds_write2_b32 v9, v0, v1 offset0:168 offset1:253
	s_waitcnt vmcnt(13)
	v_lshrrev_b32_e32 v0, 16, v12
	s_waitcnt vmcnt(12)
	v_mul_f16_sdwa v1, v54, v0 dst_sel:DWORD dst_unused:UNUSED_PAD src0_sel:WORD_1 src1_sel:DWORD
	v_mul_f16_sdwa v3, v54, v12 dst_sel:DWORD dst_unused:UNUSED_PAD src0_sel:WORD_1 src1_sel:DWORD
	v_fma_f16 v1, v54, v12, v1
	v_fma_f16 v0, v54, v0, -v3
	v_pack_b32_f16 v0, v1, v0
	s_waitcnt vmcnt(11)
	v_lshrrev_b32_e32 v1, 16, v13
	s_waitcnt vmcnt(10)
	v_mul_f16_sdwa v3, v53, v1 dst_sel:DWORD dst_unused:UNUSED_PAD src0_sel:WORD_1 src1_sel:DWORD
	v_mul_f16_sdwa v4, v53, v13 dst_sel:DWORD dst_unused:UNUSED_PAD src0_sel:WORD_1 src1_sel:DWORD
	v_fma_f16 v3, v53, v13, v3
	v_fma_f16 v1, v53, v1, -v4
	v_pack_b32_f16 v1, v3, v1
	ds_write2_b32 v6, v0, v1 offset0:82 offset1:167
	s_waitcnt vmcnt(9)
	v_lshrrev_b32_e32 v0, 16, v14
	s_waitcnt vmcnt(8)
	v_mul_f16_sdwa v1, v52, v0 dst_sel:DWORD dst_unused:UNUSED_PAD src0_sel:WORD_1 src1_sel:DWORD
	v_mul_f16_sdwa v3, v52, v14 dst_sel:DWORD dst_unused:UNUSED_PAD src0_sel:WORD_1 src1_sel:DWORD
	v_fma_f16 v1, v52, v14, v1
	v_fma_f16 v0, v52, v0, -v3
	v_pack_b32_f16 v0, v1, v0
	s_waitcnt vmcnt(7)
	v_lshrrev_b32_e32 v1, 16, v15
	s_waitcnt vmcnt(6)
	v_mul_f16_sdwa v3, v51, v1 dst_sel:DWORD dst_unused:UNUSED_PAD src0_sel:WORD_1 src1_sel:DWORD
	v_mul_f16_sdwa v4, v51, v15 dst_sel:DWORD dst_unused:UNUSED_PAD src0_sel:WORD_1 src1_sel:DWORD
	v_fma_f16 v3, v51, v15, v3
	v_fma_f16 v1, v51, v1, -v4
	v_pack_b32_f16 v1, v3, v1
	v_add_u32_e32 v10, 0xe00, v47
	ds_write2_b32 v10, v0, v1 offset0:124 offset1:209
	s_waitcnt vmcnt(5)
	v_lshrrev_b32_e32 v0, 16, v7
	s_waitcnt vmcnt(4)
	v_mul_f16_sdwa v1, v50, v0 dst_sel:DWORD dst_unused:UNUSED_PAD src0_sel:WORD_1 src1_sel:DWORD
	v_mul_f16_sdwa v3, v50, v7 dst_sel:DWORD dst_unused:UNUSED_PAD src0_sel:WORD_1 src1_sel:DWORD
	v_fma_f16 v1, v50, v7, v1
	v_fma_f16 v0, v50, v0, -v3
	v_pack_b32_f16 v0, v1, v0
	s_waitcnt vmcnt(3)
	v_lshrrev_b32_e32 v1, 16, v16
	s_waitcnt vmcnt(2)
	v_mul_f16_sdwa v3, v49, v1 dst_sel:DWORD dst_unused:UNUSED_PAD src0_sel:WORD_1 src1_sel:DWORD
	v_mul_f16_sdwa v4, v49, v16 dst_sel:DWORD dst_unused:UNUSED_PAD src0_sel:WORD_1 src1_sel:DWORD
	v_fma_f16 v3, v49, v16, v3
	v_fma_f16 v1, v49, v1, -v4
	v_pack_b32_f16 v1, v3, v1
	v_add_u32_e32 v11, 0x1000, v47
	ds_write2_b32 v11, v0, v1 offset0:166 offset1:251
	s_waitcnt vmcnt(1)
	v_lshrrev_b32_e32 v0, 16, v5
	s_waitcnt vmcnt(0)
	v_mul_f16_sdwa v1, v48, v0 dst_sel:DWORD dst_unused:UNUSED_PAD src0_sel:WORD_1 src1_sel:DWORD
	v_mul_f16_sdwa v3, v48, v5 dst_sel:DWORD dst_unused:UNUSED_PAD src0_sel:WORD_1 src1_sel:DWORD
	v_fma_f16 v1, v48, v5, v1
	v_fma_f16 v0, v48, v0, -v3
	v_pack_b32_f16 v0, v1, v0
	ds_write_b32 v47, v0 offset:5440
	s_waitcnt lgkmcnt(0)
	s_barrier
	ds_read2_b32 v[0:1], v47 offset1:85
	v_mul_lo_u16_e32 v3, 17, v63
	v_lshlrev_b32_e32 v35, 2, v3
	ds_read2_b32 v[4:5], v2 offset0:126 offset1:211
	ds_read2_b32 v[2:3], v9 offset0:168 offset1:253
	;; [unrolled: 1-line block ×7, first 2 shown]
	ds_read_b32 v14, v47 offset:5440
	s_waitcnt lgkmcnt(0)
	v_pk_add_f16 v12, v0, v1
	v_pk_add_f16 v12, v12, v17
	;; [unrolled: 1-line block ×17, first 2 shown]
	v_pk_add_f16 v1, v1, v14 neg_lo:[0,1] neg_hi:[0,1]
	v_mul_f16_sdwa v14, v1, s26 dst_sel:DWORD dst_unused:UNUSED_PAD src0_sel:WORD_1 src1_sel:DWORD
	v_fma_f16 v15, v12, s0, -v14
	v_fma_f16 v14, v12, s0, v14
	v_add_f16_e32 v19, v0, v14
	v_pk_mul_f16 v14, v12, s1
	s_mov_b32 s1, 0xb964b5c8
	v_pk_fma_f16 v23, v1, s1, v14 op_sel:[0,0,1] op_sel_hi:[1,1,0] neg_lo:[1,0,0] neg_hi:[1,0,0]
	v_pk_fma_f16 v22, v1, s1, v14 op_sel:[0,0,1] op_sel_hi:[1,1,0]
	v_bfi_b32 v14, s25, v22, v23
	v_add_f16_e32 v16, v0, v15
	v_pk_add_f16 v28, v0, v14 op_sel:[1,0] op_sel_hi:[0,1]
	v_lshrrev_b32_e32 v14, 16, v12
	v_mul_f16_e32 v15, 0xb964, v1
	v_fma_f16 v24, v14, s3, v15
	v_fma_f16 v15, v14, s3, -v15
	v_add_f16_sdwa v34, v0, v15 dst_sel:DWORD dst_unused:UNUSED_PAD src0_sel:WORD_1 src1_sel:DWORD
	v_mul_f16_sdwa v15, v1, s24 dst_sel:DWORD dst_unused:UNUSED_PAD src0_sel:WORD_1 src1_sel:DWORD
	s_movk_i32 s1, 0x3722
	v_add_f16_sdwa v31, v0, v24 dst_sel:DWORD dst_unused:UNUSED_PAD src0_sel:WORD_1 src1_sel:DWORD
	v_fma_f16 v24, v12, s1, -v15
	v_add_f16_e32 v36, v0, v24
	v_mul_f16_e32 v24, 0xbb29, v1
	v_fma_f16 v15, v12, s1, v15
	v_add_f16_e32 v38, v0, v15
	v_fma_f16 v15, v14, s1, -v24
	v_add_f16_sdwa v39, v0, v15 dst_sel:DWORD dst_unused:UNUSED_PAD src0_sel:WORD_1 src1_sel:DWORD
	v_mul_f16_sdwa v15, v1, s27 dst_sel:DWORD dst_unused:UNUSED_PAD src0_sel:WORD_1 src1_sel:DWORD
	v_fma_f16 v25, v14, s1, v24
	v_fma_f16 v24, v12, s2, -v15
	v_add_f16_e32 v40, v0, v24
	v_mul_f16_e32 v24, 0xbbf7, v1
	v_fma_f16 v15, v12, s2, v15
	v_add_f16_e32 v42, v0, v15
	v_fma_f16 v15, v14, s2, -v24
	v_add_f16_sdwa v43, v0, v15 dst_sel:DWORD dst_unused:UNUSED_PAD src0_sel:WORD_1 src1_sel:DWORD
	v_mul_f16_sdwa v15, v1, s4 dst_sel:DWORD dst_unused:UNUSED_PAD src0_sel:WORD_1 src1_sel:DWORD
	v_add_f16_sdwa v37, v0, v25 dst_sel:DWORD dst_unused:UNUSED_PAD src0_sel:WORD_1 src1_sel:DWORD
	v_fma_f16 v25, v14, s2, v24
	v_fma_f16 v24, v12, s5, -v15
	v_add_f16_e32 v44, v0, v24
	v_mul_f16_e32 v24, 0xbbb2, v1
	v_fma_f16 v15, v12, s5, v15
	v_add_f16_e32 v46, v0, v15
	v_fma_f16 v15, v14, s5, -v24
	v_add_f16_sdwa v66, v0, v15 dst_sel:DWORD dst_unused:UNUSED_PAD src0_sel:WORD_1 src1_sel:DWORD
	v_mul_f16_sdwa v15, v1, s12 dst_sel:DWORD dst_unused:UNUSED_PAD src0_sel:WORD_1 src1_sel:DWORD
	v_add_f16_sdwa v41, v0, v25 dst_sel:DWORD dst_unused:UNUSED_PAD src0_sel:WORD_1 src1_sel:DWORD
	;; [unrolled: 10-line block ×3, first 2 shown]
	v_fma_f16 v25, v14, s16, v24
	v_fma_f16 v24, v12, s18, -v15
	v_add_f16_e32 v71, v0, v24
	v_mul_f16_e32 v24, 0xb836, v1
	v_add_f16_sdwa v68, v0, v25 dst_sel:DWORD dst_unused:UNUSED_PAD src0_sel:WORD_1 src1_sel:DWORD
	v_fma_f16 v25, v14, s18, v24
	v_fma_f16 v14, v14, s18, -v24
	v_fma_f16 v15, v12, s18, v15
	v_add_f16_sdwa v74, v0, v14 dst_sel:DWORD dst_unused:UNUSED_PAD src0_sel:WORD_1 src1_sel:DWORD
	v_pk_add_f16 v14, v17, v27 neg_lo:[0,1] neg_hi:[0,1]
	v_add_f16_e32 v73, v0, v15
	v_pk_add_f16 v15, v27, v17
	v_mul_f16_sdwa v17, v14, s28 dst_sel:DWORD dst_unused:UNUSED_PAD src0_sel:WORD_1 src1_sel:DWORD
	v_fma_f16 v24, v15, s3, -v17
	v_add_f16_e32 v27, v24, v16
	v_fma_f16 v16, v15, s3, v17
	v_add_f16_e32 v19, v16, v19
	v_pk_mul_f16 v16, v15, s19
	s_mov_b32 s19, 0xbbf7b964
	v_add_f16_sdwa v72, v0, v25 dst_sel:DWORD dst_unused:UNUSED_PAD src0_sel:WORD_1 src1_sel:DWORD
	v_pk_fma_f16 v25, v14, s19, v16 op_sel:[0,0,1] op_sel_hi:[1,1,0] neg_lo:[1,0,0] neg_hi:[1,0,0]
	v_pk_fma_f16 v24, v14, s19, v16 op_sel:[0,0,1] op_sel_hi:[1,1,0]
	v_bfi_b32 v16, s25, v24, v25
	v_pk_add_f16 v28, v16, v28
	v_lshrrev_b32_e32 v16, 16, v15
	v_mul_f16_e32 v17, 0xbbf7, v14
	v_fma_f16 v75, v16, s2, v17
	v_fma_f16 v17, v16, s2, -v17
	v_add_f16_e32 v34, v17, v34
	v_mul_f16_sdwa v17, v14, s12 dst_sel:DWORD dst_unused:UNUSED_PAD src0_sel:WORD_1 src1_sel:DWORD
	v_add_f16_e32 v31, v75, v31
	v_fma_f16 v75, v15, s16, -v17
	v_add_f16_e32 v36, v75, v36
	v_mul_f16_e32 v75, 0xba62, v14
	v_fma_f16 v17, v15, s16, v17
	v_add_f16_e32 v38, v17, v38
	v_fma_f16 v17, v16, s16, -v75
	v_add_f16_e32 v39, v17, v39
	v_mul_f16_sdwa v17, v14, s20 dst_sel:DWORD dst_unused:UNUSED_PAD src0_sel:WORD_1 src1_sel:DWORD
	v_fma_f16 v76, v16, s16, v75
	v_fma_f16 v75, v15, s21, -v17
	v_add_f16_e32 v40, v75, v40
	v_mul_f16_e32 v75, 0xb1e1, v14
	v_fma_f16 v17, v15, s21, v17
	v_add_f16_e32 v42, v17, v42
	v_fma_f16 v17, v16, s21, -v75
	s_movk_i32 s19, 0x3836
	v_add_f16_e32 v43, v17, v43
	v_mul_f16_sdwa v17, v14, s19 dst_sel:DWORD dst_unused:UNUSED_PAD src0_sel:WORD_1 src1_sel:DWORD
	v_add_f16_e32 v37, v76, v37
	v_fma_f16 v76, v16, s21, v75
	v_fma_f16 v75, v15, s18, -v17
	v_add_f16_e32 v44, v75, v44
	v_mul_f16_e32 v75, 0x3836, v14
	v_fma_f16 v17, v15, s18, v17
	v_add_f16_e32 v46, v17, v46
	v_fma_f16 v17, v16, s18, -v75
	v_add_f16_e32 v66, v17, v66
	v_mul_f16_sdwa v17, v14, s23 dst_sel:DWORD dst_unused:UNUSED_PAD src0_sel:WORD_1 src1_sel:DWORD
	v_add_f16_e32 v41, v76, v41
	v_fma_f16 v76, v16, s18, v75
	v_fma_f16 v75, v15, s5, -v17
	v_add_f16_e32 v67, v75, v67
	v_mul_f16_e32 v75, 0x3bb2, v14
	v_fma_f16 v17, v15, s5, v17
	v_add_f16_e32 v69, v17, v69
	v_fma_f16 v17, v16, s5, -v75
	s_movk_i32 s19, 0x3b29
	v_add_f16_e32 v70, v17, v70
	v_mul_f16_sdwa v17, v14, s19 dst_sel:DWORD dst_unused:UNUSED_PAD src0_sel:WORD_1 src1_sel:DWORD
	v_add_f16_e32 v45, v76, v45
	v_fma_f16 v76, v16, s5, v75
	v_fma_f16 v75, v15, s1, -v17
	v_add_f16_e32 v71, v75, v71
	v_mul_f16_e32 v75, 0x3b29, v14
	v_add_f16_e32 v68, v76, v68
	v_fma_f16 v76, v16, s1, v75
	v_fma_f16 v16, v16, s1, -v75
	v_fma_f16 v17, v15, s1, v17
	v_add_f16_e32 v74, v16, v74
	v_pk_add_f16 v16, v18, v26 neg_lo:[0,1] neg_hi:[0,1]
	v_add_f16_e32 v73, v17, v73
	v_pk_add_f16 v17, v26, v18
	v_mul_f16_sdwa v18, v16, s24 dst_sel:DWORD dst_unused:UNUSED_PAD src0_sel:WORD_1 src1_sel:DWORD
	v_fma_f16 v26, v17, s1, -v18
	v_fma_f16 v18, v17, s1, v18
	v_add_f16_e32 v72, v76, v72
	v_add_f16_e32 v76, v18, v19
	v_pk_mul_f16 v18, v17, s22
	s_mov_b32 s22, 0xba62bb29
	v_add_f16_e32 v75, v26, v27
	v_pk_fma_f16 v27, v16, s22, v18 op_sel:[0,0,1] op_sel_hi:[1,1,0] neg_lo:[1,0,0] neg_hi:[1,0,0]
	v_pk_fma_f16 v26, v16, s22, v18 op_sel:[0,0,1] op_sel_hi:[1,1,0]
	v_bfi_b32 v18, s25, v26, v27
	v_pk_add_f16 v77, v18, v28
	v_lshrrev_b32_e32 v18, 16, v17
	v_mul_f16_e32 v19, 0xba62, v16
	v_fma_f16 v28, v18, s16, v19
	v_fma_f16 v19, v18, s16, -v19
	s_movk_i32 s22, 0x31e1
	v_add_f16_e32 v34, v19, v34
	v_mul_f16_sdwa v19, v16, s22 dst_sel:DWORD dst_unused:UNUSED_PAD src0_sel:WORD_1 src1_sel:DWORD
	v_add_f16_e32 v31, v28, v31
	v_fma_f16 v28, v17, s21, -v19
	v_add_f16_e32 v36, v28, v36
	v_mul_f16_e32 v28, 0x31e1, v16
	v_fma_f16 v19, v17, s21, v19
	v_add_f16_e32 v38, v19, v38
	v_fma_f16 v19, v18, s21, -v28
	v_add_f16_e32 v39, v19, v39
	v_mul_f16_sdwa v19, v16, s23 dst_sel:DWORD dst_unused:UNUSED_PAD src0_sel:WORD_1 src1_sel:DWORD
	v_fma_f16 v78, v18, s21, v28
	v_fma_f16 v28, v17, s5, -v19
	v_add_f16_e32 v40, v28, v40
	v_mul_f16_e32 v28, 0x3bb2, v16
	v_fma_f16 v19, v17, s5, v19
	v_add_f16_e32 v42, v19, v42
	v_fma_f16 v19, v18, s5, -v28
	s_movk_i32 s22, 0x3964
	v_add_f16_e32 v43, v19, v43
	v_mul_f16_sdwa v19, v16, s22 dst_sel:DWORD dst_unused:UNUSED_PAD src0_sel:WORD_1 src1_sel:DWORD
	v_add_f16_e32 v37, v78, v37
	v_fma_f16 v78, v18, s5, v28
	v_fma_f16 v28, v17, s3, -v19
	v_add_f16_e32 v44, v28, v44
	v_mul_f16_e32 v28, 0x3964, v16
	v_fma_f16 v19, v17, s3, v19
	v_add_f16_e32 v46, v19, v46
	v_fma_f16 v19, v18, s3, -v28
	v_add_f16_e32 v66, v19, v66
	v_mul_f16_sdwa v19, v16, s26 dst_sel:DWORD dst_unused:UNUSED_PAD src0_sel:WORD_1 src1_sel:DWORD
	v_add_f16_e32 v41, v78, v41
	v_fma_f16 v78, v18, s3, v28
	v_fma_f16 v28, v17, s0, -v19
	v_add_f16_e32 v67, v28, v67
	v_mul_f16_e32 v28, 0xb5c8, v16
	v_fma_f16 v19, v17, s0, v19
	v_add_f16_e32 v69, v19, v69
	v_fma_f16 v19, v18, s0, -v28
	v_add_f16_e32 v70, v19, v70
	v_mul_f16_sdwa v19, v16, s27 dst_sel:DWORD dst_unused:UNUSED_PAD src0_sel:WORD_1 src1_sel:DWORD
	v_add_f16_e32 v45, v78, v45
	v_fma_f16 v78, v18, s0, v28
	v_fma_f16 v28, v17, s2, -v19
	v_add_f16_e32 v71, v28, v71
	v_mul_f16_e32 v28, 0xbbf7, v16
	v_add_f16_e32 v68, v78, v68
	v_fma_f16 v78, v18, s2, v28
	v_fma_f16 v18, v18, s2, -v28
	v_fma_f16 v19, v17, s2, v19
	v_add_f16_e32 v74, v18, v74
	v_pk_add_f16 v18, v29, v21 neg_lo:[0,1] neg_hi:[0,1]
	v_add_f16_e32 v73, v19, v73
	v_pk_add_f16 v19, v21, v29
	v_mul_f16_sdwa v21, v18, s27 dst_sel:DWORD dst_unused:UNUSED_PAD src0_sel:WORD_1 src1_sel:DWORD
	v_fma_f16 v28, v19, s2, -v21
	v_fma_f16 v21, v19, s2, v21
	v_add_f16_e32 v76, v21, v76
	v_pk_mul_f16 v21, v19, s29
	s_mov_b32 s29, 0xb1e1bbf7
	v_add_f16_e32 v75, v28, v75
	v_pk_fma_f16 v29, v18, s29, v21 op_sel:[0,0,1] op_sel_hi:[1,1,0] neg_lo:[1,0,0] neg_hi:[1,0,0]
	v_pk_fma_f16 v28, v18, s29, v21 op_sel:[0,0,1] op_sel_hi:[1,1,0]
	v_bfi_b32 v21, s25, v28, v29
	v_add_f16_e32 v72, v78, v72
	v_pk_add_f16 v77, v21, v77
	v_lshrrev_b32_e32 v21, 16, v19
	v_mul_f16_e32 v78, 0xb1e1, v18
	v_fma_f16 v79, v21, s21, v78
	v_add_f16_e32 v79, v79, v31
	v_fma_f16 v31, v21, s21, -v78
	v_add_f16_e32 v34, v31, v34
	v_mul_f16_sdwa v31, v18, s23 dst_sel:DWORD dst_unused:UNUSED_PAD src0_sel:WORD_1 src1_sel:DWORD
	v_fma_f16 v78, v19, s5, -v31
	v_add_f16_e32 v36, v78, v36
	v_mul_f16_e32 v78, 0x3bb2, v18
	v_fma_f16 v31, v19, s5, v31
	v_add_f16_e32 v38, v31, v38
	v_fma_f16 v31, v21, s5, -v78
	s_movk_i32 s23, 0x35c8
	v_add_f16_e32 v39, v31, v39
	v_mul_f16_sdwa v31, v18, s23 dst_sel:DWORD dst_unused:UNUSED_PAD src0_sel:WORD_1 src1_sel:DWORD
	v_fma_f16 v80, v21, s5, v78
	v_fma_f16 v78, v19, s0, -v31
	v_add_f16_e32 v40, v78, v40
	v_mul_f16_e32 v78, 0x35c8, v18
	v_fma_f16 v31, v19, s0, v31
	v_add_f16_e32 v42, v31, v42
	v_fma_f16 v31, v21, s0, -v78
	v_add_f16_e32 v43, v31, v43
	v_mul_f16_sdwa v31, v18, s24 dst_sel:DWORD dst_unused:UNUSED_PAD src0_sel:WORD_1 src1_sel:DWORD
	v_add_f16_e32 v37, v80, v37
	v_fma_f16 v80, v21, s0, v78
	v_fma_f16 v78, v19, s1, -v31
	v_add_f16_e32 v44, v78, v44
	v_mul_f16_e32 v78, 0xbb29, v18
	v_fma_f16 v31, v19, s1, v31
	v_add_f16_e32 v46, v31, v46
	v_fma_f16 v31, v21, s1, -v78
	v_add_f16_e32 v66, v31, v66
	v_mul_f16_sdwa v31, v18, s17 dst_sel:DWORD dst_unused:UNUSED_PAD src0_sel:WORD_1 src1_sel:DWORD
	v_add_f16_e32 v41, v80, v41
	v_fma_f16 v80, v21, s1, v78
	v_fma_f16 v78, v19, s18, -v31
	v_add_f16_e32 v67, v78, v67
	v_mul_f16_e32 v78, 0xb836, v18
	v_fma_f16 v31, v19, s18, v31
	v_add_f16_e32 v69, v31, v69
	v_fma_f16 v31, v21, s18, -v78
	s_movk_i32 s29, 0x3a62
	v_add_f16_e32 v70, v31, v70
	v_mul_f16_sdwa v31, v18, s29 dst_sel:DWORD dst_unused:UNUSED_PAD src0_sel:WORD_1 src1_sel:DWORD
	v_add_f16_e32 v45, v80, v45
	v_fma_f16 v80, v21, s18, v78
	v_fma_f16 v78, v19, s16, -v31
	v_add_f16_e32 v71, v78, v71
	v_mul_f16_e32 v78, 0x3a62, v18
	v_add_f16_e32 v68, v80, v68
	v_fma_f16 v80, v21, s16, v78
	v_fma_f16 v21, v21, s16, -v78
	v_add_f16_e32 v74, v21, v74
	v_pk_add_f16 v21, v20, v30
	v_pk_add_f16 v20, v30, v20 neg_lo:[0,1] neg_hi:[0,1]
	v_fma_f16 v31, v19, s16, v31
	v_mul_f16_sdwa v30, v20, s4 dst_sel:DWORD dst_unused:UNUSED_PAD src0_sel:WORD_1 src1_sel:DWORD
	v_add_f16_e32 v73, v31, v73
	v_fma_f16 v31, v21, s5, -v30
	v_fma_f16 v30, v21, s5, v30
	v_add_f16_e32 v76, v30, v76
	v_pk_mul_f16 v30, v21, s30
	s_mov_b32 s30, 0x3836bbb2
	v_add_f16_e32 v75, v31, v75
	v_pk_fma_f16 v31, v20, s30, v30 op_sel:[0,0,1] op_sel_hi:[1,1,0] neg_lo:[1,0,0] neg_hi:[1,0,0]
	v_pk_fma_f16 v30, v20, s30, v30 op_sel:[0,0,1] op_sel_hi:[1,1,0]
	v_bfi_b32 v78, s25, v30, v31
	v_add_f16_e32 v72, v80, v72
	v_pk_add_f16 v77, v78, v77
	v_lshrrev_b32_e32 v78, 16, v21
	v_mul_f16_e32 v80, 0x3836, v20
	v_fma_f16 v81, v78, s18, v80
	v_fma_f16 v80, v78, s18, -v80
	v_add_f16_e32 v34, v80, v34
	v_mul_f16_sdwa v80, v20, s22 dst_sel:DWORD dst_unused:UNUSED_PAD src0_sel:WORD_1 src1_sel:DWORD
	v_add_f16_e32 v79, v81, v79
	v_fma_f16 v81, v21, s3, -v80
	v_add_f16_e32 v36, v81, v36
	v_mul_f16_e32 v81, 0x3964, v20
	v_fma_f16 v82, v78, s3, v81
	v_add_f16_e32 v82, v82, v37
	v_fma_f16 v37, v21, s3, v80
	v_add_f16_e32 v38, v37, v38
	v_fma_f16 v37, v78, s3, -v81
	v_add_f16_e32 v39, v37, v39
	v_mul_f16_sdwa v37, v20, s24 dst_sel:DWORD dst_unused:UNUSED_PAD src0_sel:WORD_1 src1_sel:DWORD
	v_fma_f16 v80, v21, s1, -v37
	v_add_f16_e32 v40, v80, v40
	v_mul_f16_e32 v80, 0xbb29, v20
	v_fma_f16 v37, v21, s1, v37
	v_add_f16_e32 v42, v37, v42
	v_fma_f16 v37, v78, s1, -v80
	v_add_f16_e32 v43, v37, v43
	v_mul_f16_sdwa v37, v20, s20 dst_sel:DWORD dst_unused:UNUSED_PAD src0_sel:WORD_1 src1_sel:DWORD
	v_fma_f16 v81, v78, s1, v80
	v_fma_f16 v80, v21, s21, -v37
	v_add_f16_e32 v44, v80, v44
	v_mul_f16_e32 v80, 0xb1e1, v20
	v_fma_f16 v37, v21, s21, v37
	v_add_f16_e32 v46, v37, v46
	v_fma_f16 v37, v78, s21, -v80
	s_movk_i32 s24, 0x3bf7
	v_add_f16_e32 v66, v37, v66
	v_mul_f16_sdwa v37, v20, s24 dst_sel:DWORD dst_unused:UNUSED_PAD src0_sel:WORD_1 src1_sel:DWORD
	v_add_f16_e32 v41, v81, v41
	v_fma_f16 v81, v78, s21, v80
	v_fma_f16 v80, v21, s2, -v37
	v_add_f16_e32 v67, v80, v67
	v_mul_f16_e32 v80, 0x3bf7, v20
	v_fma_f16 v37, v21, s2, v37
	v_add_f16_e32 v69, v37, v69
	v_fma_f16 v37, v78, s2, -v80
	v_add_f16_e32 v70, v37, v70
	v_mul_f16_sdwa v37, v20, s26 dst_sel:DWORD dst_unused:UNUSED_PAD src0_sel:WORD_1 src1_sel:DWORD
	v_add_f16_e32 v45, v81, v45
	v_fma_f16 v81, v78, s2, v80
	v_fma_f16 v80, v21, s0, -v37
	v_add_f16_e32 v71, v80, v71
	v_mul_f16_e32 v80, 0xb5c8, v20
	v_fma_f16 v37, v21, s0, v37
	v_add_f16_e32 v73, v37, v73
	v_fma_f16 v37, v78, s0, -v80
	v_add_f16_e32 v74, v37, v74
	v_pk_add_f16 v37, v7, v4
	v_pk_add_f16 v4, v4, v7 neg_lo:[0,1] neg_hi:[0,1]
	v_mul_f16_sdwa v7, v4, s12 dst_sel:DWORD dst_unused:UNUSED_PAD src0_sel:WORD_1 src1_sel:DWORD
	v_add_f16_e32 v68, v81, v68
	v_fma_f16 v81, v78, s0, v80
	v_fma_f16 v78, v37, s16, -v7
	v_fma_f16 v7, v37, s16, v7
	s_mov_b32 s30, 0xb8d2b461
	v_add_f16_e32 v76, v7, v76
	v_pk_mul_f16 v7, v37, s30
	s_mov_b32 s30, 0x3bb2ba62
	v_add_f16_e32 v75, v78, v75
	v_pk_fma_f16 v78, v4, s30, v7 op_sel:[0,0,1] op_sel_hi:[1,1,0] neg_lo:[1,0,0] neg_hi:[1,0,0]
	v_pk_fma_f16 v80, v4, s30, v7 op_sel:[0,0,1] op_sel_hi:[1,1,0]
	v_bfi_b32 v7, s25, v80, v78
	v_add_f16_e32 v72, v81, v72
	v_pk_add_f16 v77, v7, v77
	v_lshrrev_b32_e32 v7, 16, v37
	v_mul_f16_e32 v81, 0x3bb2, v4
	v_fma_f16 v83, v7, s5, v81
	v_fma_f16 v81, v7, s5, -v81
	v_add_f16_e32 v34, v81, v34
	v_mul_f16_sdwa v81, v4, s26 dst_sel:DWORD dst_unused:UNUSED_PAD src0_sel:WORD_1 src1_sel:DWORD
	v_add_f16_e32 v79, v83, v79
	v_fma_f16 v83, v37, s0, -v81
	v_add_f16_e32 v36, v83, v36
	v_mul_f16_e32 v83, 0xb5c8, v4
	v_fma_f16 v81, v37, s0, v81
	v_add_f16_e32 v38, v81, v38
	v_fma_f16 v81, v7, s0, -v83
	v_add_f16_e32 v39, v81, v39
	v_mul_f16_sdwa v81, v4, s17 dst_sel:DWORD dst_unused:UNUSED_PAD src0_sel:WORD_1 src1_sel:DWORD
	v_fma_f16 v84, v7, s0, v83
	v_fma_f16 v83, v37, s18, -v81
	v_add_f16_e32 v40, v83, v40
	v_mul_f16_e32 v83, 0xb836, v4
	v_fma_f16 v81, v37, s18, v81
	v_add_f16_e32 v42, v81, v42
	v_fma_f16 v81, v7, s18, -v83
	v_add_f16_e32 v43, v81, v43
	v_mul_f16_sdwa v81, v4, s24 dst_sel:DWORD dst_unused:UNUSED_PAD src0_sel:WORD_1 src1_sel:DWORD
	v_add_f16_e32 v82, v84, v82
	v_fma_f16 v84, v7, s18, v83
	v_fma_f16 v83, v37, s2, -v81
	v_add_f16_e32 v44, v83, v44
	v_mul_f16_e32 v83, 0x3bf7, v4
	v_fma_f16 v81, v37, s2, v81
	v_add_f16_e32 v46, v81, v46
	v_fma_f16 v81, v7, s2, -v83
	v_add_f16_e32 v66, v81, v66
	v_mul_f16_sdwa v81, v4, s28 dst_sel:DWORD dst_unused:UNUSED_PAD src0_sel:WORD_1 src1_sel:DWORD
	v_add_f16_e32 v41, v84, v41
	;; [unrolled: 10-line block ×3, first 2 shown]
	v_fma_f16 v84, v7, s3, v83
	v_fma_f16 v83, v37, s21, -v81
	v_add_f16_e32 v71, v83, v71
	v_mul_f16_e32 v83, 0xb1e1, v4
	v_add_f16_e32 v68, v84, v68
	v_fma_f16 v84, v7, s21, v83
	v_fma_f16 v7, v7, s21, -v83
	v_add_f16_e32 v74, v7, v74
	v_pk_add_f16 v7, v6, v5
	v_pk_add_f16 v5, v5, v6 neg_lo:[0,1] neg_hi:[0,1]
	v_fma_f16 v81, v37, s21, v81
	v_mul_f16_sdwa v6, v5, s17 dst_sel:DWORD dst_unused:UNUSED_PAD src0_sel:WORD_1 src1_sel:DWORD
	v_add_f16_e32 v73, v81, v73
	v_fma_f16 v81, v7, s18, -v6
	v_fma_f16 v6, v7, s18, v6
	s_mov_b32 s28, 0xbacd3722
	v_add_f16_e32 v6, v6, v76
	v_pk_mul_f16 v76, v7, s28
	s_mov_b32 s28, 0x3b29b836
	v_add_f16_e32 v75, v81, v75
	v_pk_fma_f16 v81, v5, s28, v76 op_sel:[0,0,1] op_sel_hi:[1,1,0] neg_lo:[1,0,0] neg_hi:[1,0,0]
	v_pk_fma_f16 v76, v5, s28, v76 op_sel:[0,0,1] op_sel_hi:[1,1,0]
	v_bfi_b32 v83, s25, v76, v81
	v_add_f16_e32 v72, v84, v72
	v_pk_add_f16 v77, v83, v77
	v_lshrrev_b32_e32 v83, 16, v7
	v_mul_f16_e32 v84, 0x3b29, v5
	v_fma_f16 v85, v83, s1, v84
	v_fma_f16 v84, v83, s1, -v84
	v_add_f16_e32 v84, v84, v34
	v_mul_f16_sdwa v34, v5, s27 dst_sel:DWORD dst_unused:UNUSED_PAD src0_sel:WORD_1 src1_sel:DWORD
	v_add_f16_e32 v79, v85, v79
	v_fma_f16 v85, v7, s2, -v34
	v_add_f16_e32 v85, v85, v36
	v_mul_f16_e32 v36, 0xbbf7, v5
	v_fma_f16 v34, v7, s2, v34
	v_add_f16_e32 v38, v34, v38
	v_fma_f16 v34, v83, s2, -v36
	v_add_f16_e32 v39, v34, v39
	v_mul_f16_sdwa v34, v5, s29 dst_sel:DWORD dst_unused:UNUSED_PAD src0_sel:WORD_1 src1_sel:DWORD
	v_fma_f16 v86, v83, s2, v36
	v_fma_f16 v36, v7, s16, -v34
	v_add_f16_e32 v40, v36, v40
	v_mul_f16_e32 v36, 0x3a62, v5
	v_fma_f16 v34, v7, s16, v34
	v_add_f16_e32 v42, v34, v42
	v_fma_f16 v34, v83, s16, -v36
	v_add_f16_e32 v43, v34, v43
	v_mul_f16_sdwa v34, v5, s26 dst_sel:DWORD dst_unused:UNUSED_PAD src0_sel:WORD_1 src1_sel:DWORD
	v_add_f16_e32 v82, v86, v82
	v_fma_f16 v86, v83, s16, v36
	v_fma_f16 v36, v7, s0, -v34
	v_add_f16_e32 v44, v36, v44
	v_mul_f16_e32 v36, 0xb5c8, v5
	v_fma_f16 v34, v7, s0, v34
	v_add_f16_e32 v46, v34, v46
	v_fma_f16 v34, v83, s0, -v36
	v_add_f16_e32 v66, v34, v66
	v_mul_f16_sdwa v34, v5, s20 dst_sel:DWORD dst_unused:UNUSED_PAD src0_sel:WORD_1 src1_sel:DWORD
	v_add_f16_e32 v41, v86, v41
	v_fma_f16 v86, v83, s0, v36
	v_fma_f16 v36, v7, s21, -v34
	v_add_f16_e32 v67, v36, v67
	v_mul_f16_e32 v36, 0xb1e1, v5
	v_fma_f16 v34, v7, s21, v34
	v_add_f16_e32 v69, v34, v69
	v_fma_f16 v34, v83, s21, -v36
	v_add_f16_e32 v70, v34, v70
	v_mul_f16_sdwa v34, v5, s22 dst_sel:DWORD dst_unused:UNUSED_PAD src0_sel:WORD_1 src1_sel:DWORD
	v_add_f16_e32 v45, v86, v45
	v_fma_f16 v86, v83, s21, v36
	v_fma_f16 v36, v7, s3, -v34
	v_add_f16_e32 v71, v36, v71
	v_mul_f16_e32 v36, 0x3964, v5
	v_add_f16_e32 v68, v86, v68
	v_fma_f16 v86, v83, s3, v36
	v_add_f16_e32 v72, v86, v72
	v_fma_f16 v34, v7, s3, v34
	v_pk_add_f16 v86, v2, v3 neg_lo:[0,1] neg_hi:[0,1]
	v_add_f16_e32 v73, v34, v73
	v_fma_f16 v34, v83, s3, -v36
	v_pk_add_f16 v83, v3, v2
	v_mul_f16_sdwa v2, v86, s20 dst_sel:DWORD dst_unused:UNUSED_PAD src0_sel:WORD_1 src1_sel:DWORD
	v_fma_f16 v3, v83, s21, -v2
	v_fma_f16 v2, v83, s21, v2
	v_add_f16_e32 v74, v34, v74
	v_add_f16_e32 v34, v2, v6
	v_add_f16_sdwa v6, v0, v23 dst_sel:DWORD dst_unused:UNUSED_PAD src0_sel:WORD_1 src1_sel:DWORD
	v_add_f16_e32 v6, v25, v6
	v_add_f16_e32 v6, v27, v6
	;; [unrolled: 1-line block ×3, first 2 shown]
	s_mov_b32 s26, 0xbbdd3b76
	v_add_f16_e32 v6, v31, v6
	v_pk_mul_f16 v2, v83, s26
	s_mov_b32 s26, 0x35c8b1e1
	v_add_f16_e32 v6, v78, v6
	v_add_f16_e32 v75, v3, v75
	v_pk_fma_f16 v3, v86, s26, v2 op_sel:[0,0,1] op_sel_hi:[1,1,0] neg_lo:[1,0,0] neg_hi:[1,0,0]
	v_add_f16_e32 v6, v81, v6
	v_pk_fma_f16 v2, v86, s26, v2 op_sel:[0,0,1] op_sel_hi:[1,1,0]
	v_add_f16_e32 v36, v3, v6
	v_bfi_b32 v3, s25, v2, v3
	v_pk_add_f16 v25, v3, v77
	v_lshrrev_b32_e32 v27, 16, v83
	v_mul_f16_e32 v3, 0x35c8, v86
	v_fma_f16 v6, v27, s0, v3
	v_add_f16_e32 v29, v6, v79
	v_add_f16_sdwa v6, v0, v22 dst_sel:DWORD dst_unused:UNUSED_PAD src0_sel:DWORD src1_sel:WORD_1
	v_add_f16_sdwa v6, v24, v6 dst_sel:DWORD dst_unused:UNUSED_PAD src0_sel:WORD_1 src1_sel:DWORD
	v_add_f16_sdwa v6, v26, v6 dst_sel:DWORD dst_unused:UNUSED_PAD src0_sel:WORD_1 src1_sel:DWORD
	;; [unrolled: 1-line block ×7, first 2 shown]
	v_fma_f16 v2, v27, s0, -v3
	v_add_f16_e32 v31, v2, v84
	v_mul_f16_sdwa v2, v86, s17 dst_sel:DWORD dst_unused:UNUSED_PAD src0_sel:WORD_1 src1_sel:DWORD
	v_fma_f16 v3, v83, s18, -v2
	v_add_f16_e32 v26, v3, v85
	v_mul_f16_e32 v3, 0xb836, v86
	v_fma_f16 v6, v27, s18, v3
	v_add_f16_e32 v28, v6, v82
	v_mul_f16_sdwa v6, v86, s22 dst_sel:DWORD dst_unused:UNUSED_PAD src0_sel:WORD_1 src1_sel:DWORD
	v_fma_f16 v2, v83, s18, v2
	v_fma_f16 v22, v83, s3, -v6
	v_add_f16_e32 v2, v2, v38
	v_add_f16_e32 v38, v22, v40
	v_mul_f16_e32 v22, 0x3964, v86
	v_fma_f16 v3, v27, s18, -v3
	v_fma_f16 v23, v27, s3, v22
	v_add_f16_e32 v3, v3, v39
	v_add_f16_e32 v39, v23, v41
	v_mul_f16_sdwa v23, v86, s12 dst_sel:DWORD dst_unused:UNUSED_PAD src0_sel:WORD_1 src1_sel:DWORD
	v_fma_f16 v6, v83, s3, v6
	v_fma_f16 v24, v83, s16, -v23
	v_add_f16_e32 v6, v6, v42
	v_fma_f16 v22, v27, s3, -v22
	v_add_f16_e32 v40, v24, v44
	v_mul_f16_e32 v24, 0xba62, v86
	v_mul_f16_sdwa v42, v86, s19 dst_sel:DWORD dst_unused:UNUSED_PAD src0_sel:WORD_1 src1_sel:DWORD
	v_add_f16_e32 v22, v22, v43
	v_fma_f16 v41, v27, s16, v24
	v_fma_f16 v23, v83, s16, v23
	v_fma_f16 v43, v83, s1, -v42
	v_mul_f16_e32 v44, 0x3b29, v86
	v_add_f16_e32 v41, v41, v45
	v_add_f16_e32 v23, v23, v46
	v_fma_f16 v24, v27, s16, -v24
	v_add_f16_e32 v43, v43, v67
	v_fma_f16 v45, v27, s1, v44
	v_mul_f16_sdwa v46, v86, s4 dst_sel:DWORD dst_unused:UNUSED_PAD src0_sel:WORD_1 src1_sel:DWORD
	v_mul_f16_e32 v67, 0xbbb2, v86
	v_alignbit_b32 v29, v29, v25, 16
	v_pack_b32_f16 v25, v75, v25
	v_add_f16_e32 v24, v24, v66
	v_add_f16_e32 v45, v45, v68
	v_fma_f16 v66, v83, s5, -v46
	v_fma_f16 v68, v27, s5, v67
	s_barrier
	ds_write2_b32 v35, v25, v29 offset0:1 offset1:2
	v_pack_b32_f16 v25, v38, v39
	v_pack_b32_f16 v26, v26, v28
	v_add_f16_e32 v66, v66, v71
	v_add_f16_e32 v68, v68, v72
	ds_write2_b32 v35, v26, v25 offset0:3 offset1:4
	v_pack_b32_f16 v25, v43, v45
	v_pack_b32_f16 v26, v40, v41
	ds_write2_b32 v35, v26, v25 offset0:5 offset1:6
	v_pack_b32_f16 v25, v66, v68
	v_pk_mul_f16 v12, v12, s21 op_sel_hi:[1,0]
	ds_write2_b32 v35, v13, v25 offset1:7
	v_pk_fma_f16 v13, v1, s20, v12 op_sel:[0,0,1] op_sel_hi:[1,0,0] neg_lo:[1,0,0] neg_hi:[1,0,0]
	v_pk_fma_f16 v1, v1, s20, v12 op_sel:[0,0,1] op_sel_hi:[1,0,0]
	v_pk_add_f16 v13, v0, v13 op_sel:[1,0] op_sel_hi:[0,1]
	v_pk_add_f16 v0, v0, v1 op_sel:[1,0] op_sel_hi:[0,1]
	v_pk_mul_f16 v1, v15, s0 op_sel_hi:[1,0]
	v_pk_fma_f16 v12, v14, s23, v1 op_sel:[0,0,1] op_sel_hi:[1,0,0] neg_lo:[1,0,0] neg_hi:[1,0,0]
	v_pk_fma_f16 v1, v14, s23, v1 op_sel:[0,0,1] op_sel_hi:[1,0,0]
	v_pk_add_f16 v0, v1, v0
	v_pk_mul_f16 v1, v17, s18 op_sel_hi:[1,0]
	v_pk_add_f16 v12, v12, v13
	v_pk_fma_f16 v13, v16, s17, v1 op_sel:[0,0,1] op_sel_hi:[1,0,0] neg_lo:[1,0,0] neg_hi:[1,0,0]
	v_pk_fma_f16 v1, v16, s17, v1 op_sel:[0,0,1] op_sel_hi:[1,0,0]
	v_pk_add_f16 v0, v1, v0
	v_pk_mul_f16 v1, v19, s3 op_sel_hi:[1,0]
	v_pk_add_f16 v12, v13, v12
	;; [unrolled: 5-line block ×4, first 2 shown]
	v_pk_fma_f16 v13, v4, s19, v1 op_sel:[0,0,1] op_sel_hi:[1,0,0] neg_lo:[1,0,0] neg_hi:[1,0,0]
	v_pk_fma_f16 v1, v4, s19, v1 op_sel:[0,0,1] op_sel_hi:[1,0,0]
	v_pk_add_f16 v0, v1, v0
	v_pk_mul_f16 v1, v7, s5 op_sel_hi:[1,0]
	v_pk_fma_f16 v4, v5, s4, v1 op_sel:[0,0,1] op_sel_hi:[1,0,0] neg_lo:[1,0,0] neg_hi:[1,0,0]
	v_pk_fma_f16 v1, v5, s4, v1 op_sel:[0,0,1] op_sel_hi:[1,0,0]
	v_pk_add_f16 v12, v13, v12
	v_pk_add_f16 v0, v1, v0
	v_pk_mul_f16 v1, v83, s2 op_sel_hi:[1,0]
	v_pk_add_f16 v4, v4, v12
	v_pk_fma_f16 v5, v86, s24, v1 op_sel:[0,0,1] op_sel_hi:[1,0,0] neg_lo:[1,0,0] neg_hi:[1,0,0]
	v_pk_fma_f16 v1, v86, s24, v1 op_sel:[0,0,1] op_sel_hi:[1,0,0]
	v_fma_f16 v42, v83, s1, v42
	v_fma_f16 v44, v27, s1, -v44
	v_fma_f16 v46, v83, s5, v46
	v_fma_f16 v27, v27, s5, -v67
	v_pk_add_f16 v4, v5, v4
	v_pk_add_f16 v0, v1, v0
	v_add_f16_e32 v42, v42, v69
	v_add_f16_e32 v44, v44, v70
	;; [unrolled: 1-line block ×4, first 2 shown]
	v_alignbit_b32 v1, v4, v0, 16
	v_alignbit_b32 v0, v0, v4, 16
	ds_write2_b32 v35, v0, v1 offset0:8 offset1:9
	v_pack_b32_f16 v0, v42, v44
	v_pack_b32_f16 v1, v46, v27
	ds_write2_b32 v35, v1, v0 offset0:10 offset1:11
	v_pack_b32_f16 v0, v6, v22
	v_pack_b32_f16 v1, v23, v24
	;; [unrolled: 3-line block ×3, first 2 shown]
	ds_write2_b32 v35, v1, v0 offset0:14 offset1:15
	v_pack_b32_f16 v0, v34, v36
	ds_write_b32 v35, v0 offset:64
	v_add_u32_e32 v0, 0x200, v47
	s_waitcnt lgkmcnt(0)
	s_barrier
	ds_read2_b32 v[18:19], v47 offset1:85
	ds_read2_b32 v[16:17], v0 offset0:42 offset1:161
	ds_read2_b32 v[26:27], v9 offset0:66 offset1:151
	v_add_u32_e32 v0, 0xa00, v47
	ds_read2_b32 v[20:21], v0 offset0:108 offset1:227
	ds_read2_b32 v[28:29], v11 offset0:132 offset1:217
	;; [unrolled: 1-line block ×4, first 2 shown]
	ds_read_b32 v37, v47 offset:5304
	v_cmp_gt_u16_e64 s[0:1], 34, v63
                                        ; implicit-def: $vgpr38
                                        ; implicit-def: $vgpr43
                                        ; implicit-def: $vgpr39
                                        ; implicit-def: $vgpr41
                                        ; implicit-def: $vgpr40
                                        ; implicit-def: $vgpr42
	s_and_saveexec_b64 s[2:3], s[0:1]
	s_cbranch_execz .LBB0_3
; %bb.2:
	ds_read_b32 v30, v47 offset:1020
	ds_read_b32 v34, v47 offset:2176
	;; [unrolled: 1-line block ×5, first 2 shown]
	s_waitcnt lgkmcnt(4)
	v_lshrrev_b32_e32 v31, 16, v30
	s_waitcnt lgkmcnt(3)
	v_lshrrev_b32_e32 v36, 16, v34
	;; [unrolled: 2-line block ×5, first 2 shown]
.LBB0_3:
	s_or_b64 exec, exec, s[2:3]
	s_movk_i32 s2, 0xf1
	v_mul_lo_u16_sdwa v0, v63, s2 dst_sel:DWORD dst_unused:UNUSED_PAD src0_sel:BYTE_0 src1_sel:DWORD
	v_lshrrev_b16_e32 v44, 12, v0
	v_mul_lo_u16_e32 v0, 17, v44
	v_sub_u16_e32 v0, v63, v0
	v_and_b32_e32 v45, 0xff, v0
	v_lshlrev_b32_e32 v0, 4, v45
	global_load_dwordx4 v[4:7], v0, s[14:15]
	v_add_u16_e32 v0, 0x55, v63
	v_mul_lo_u16_sdwa v1, v0, s2 dst_sel:DWORD dst_unused:UNUSED_PAD src0_sel:BYTE_0 src1_sel:DWORD
	v_lshrrev_b16_e32 v46, 12, v1
	v_mul_lo_u16_e32 v1, 17, v46
	v_sub_u16_e32 v0, v0, v1
	v_and_b32_e32 v75, 0xff, v0
	v_lshlrev_b32_e32 v0, 4, v75
	global_load_dwordx4 v[8:11], v0, s[14:15]
	v_add_u16_e32 v0, 0xaa, v63
	;; [unrolled: 8-line block ×3, first 2 shown]
	v_mul_u32_u24_e32 v1, 0xf0f1, v0
	v_lshrrev_b32_e32 v66, 20, v1
	v_mul_lo_u16_e32 v1, 17, v66
	v_sub_u16_e32 v67, v0, v1
	v_lshlrev_b16_e32 v0, 2, v67
	v_lshlrev_b32_e32 v0, 2, v0
	global_load_dwordx4 v[0:3], v0, s[14:15]
	s_waitcnt lgkmcnt(6)
	v_lshrrev_b32_e32 v69, 16, v17
	s_waitcnt lgkmcnt(2)
	v_lshrrev_b32_e32 v74, 16, v24
	;; [unrolled: 2-line block ×4, first 2 shown]
	v_lshrrev_b32_e32 v70, 16, v26
	v_lshrrev_b32_e32 v72, 16, v28
	;; [unrolled: 1-line block ×6, first 2 shown]
	s_movk_i32 s3, 0x3b9c
	s_mov_b32 s5, 0xbb9c
	s_movk_i32 s2, 0x38b4
	s_mov_b32 s12, 0xb8b4
	s_movk_i32 s4, 0x34f2
	v_lshrrev_b32_e32 v68, 16, v18
	v_lshrrev_b32_e32 v78, 16, v27
	;; [unrolled: 1-line block ×5, first 2 shown]
	v_mul_u32_u24_e32 v44, 0x55, v44
	s_waitcnt vmcnt(0)
	s_barrier
	v_mul_f16_sdwa v86, v69, v4 dst_sel:DWORD dst_unused:UNUSED_PAD src0_sel:DWORD src1_sel:WORD_1
	v_mul_f16_sdwa v87, v17, v4 dst_sel:DWORD dst_unused:UNUSED_PAD src0_sel:DWORD src1_sel:WORD_1
	v_fma_f16 v86, v17, v4, -v86
	v_mul_f16_sdwa v89, v26, v5 dst_sel:DWORD dst_unused:UNUSED_PAD src0_sel:DWORD src1_sel:WORD_1
	v_mul_f16_sdwa v88, v70, v5 dst_sel:DWORD dst_unused:UNUSED_PAD src0_sel:DWORD src1_sel:WORD_1
	v_fma_f16 v70, v70, v5, v89
	v_mul_f16_sdwa v92, v72, v7 dst_sel:DWORD dst_unused:UNUSED_PAD src0_sel:DWORD src1_sel:WORD_1
	v_mul_f16_sdwa v90, v71, v6 dst_sel:DWORD dst_unused:UNUSED_PAD src0_sel:DWORD src1_sel:WORD_1
	;; [unrolled: 1-line block ×3, first 2 shown]
	v_fma_f16 v89, v24, v8, -v94
	v_mul_f16_sdwa v93, v28, v7 dst_sel:DWORD dst_unused:UNUSED_PAD src0_sel:DWORD src1_sel:WORD_1
	v_fma_f16 v69, v69, v4, v87
	v_fma_f16 v87, v26, v5, -v88
	v_fma_f16 v28, v28, v7, -v92
	v_mul_f16_sdwa v98, v79, v10 dst_sel:DWORD dst_unused:UNUSED_PAD src0_sel:DWORD src1_sel:WORD_1
	v_fma_f16 v88, v21, v6, -v90
	v_mul_f16_sdwa v17, v23, v14 dst_sel:DWORD dst_unused:UNUSED_PAD src0_sel:DWORD src1_sel:WORD_1
	v_mul_f16_sdwa v106, v84, v14 dst_sel:DWORD dst_unused:UNUSED_PAD src0_sel:DWORD src1_sel:WORD_1
	v_fma_f16 v84, v84, v14, v17
	v_mul_f16_sdwa v17, v85, v15 dst_sel:DWORD dst_unused:UNUSED_PAD src0_sel:DWORD src1_sel:WORD_1
	v_fma_f16 v94, v37, v15, -v17
	v_mul_f16_sdwa v17, v37, v15 dst_sel:DWORD dst_unused:UNUSED_PAD src0_sel:DWORD src1_sel:WORD_1
	v_mul_f16_sdwa v104, v83, v13 dst_sel:DWORD dst_unused:UNUSED_PAD src0_sel:DWORD src1_sel:WORD_1
	v_fma_f16 v37, v85, v15, v17
	v_mul_f16_sdwa v17, v36, v0 dst_sel:DWORD dst_unused:UNUSED_PAD src0_sel:DWORD src1_sel:WORD_1
	v_mul_f16_sdwa v105, v20, v13 dst_sel:DWORD dst_unused:UNUSED_PAD src0_sel:DWORD src1_sel:WORD_1
	v_fma_f16 v92, v20, v13, -v104
	v_fma_f16 v17, v34, v0, -v17
	v_mul_f16_sdwa v20, v34, v0 dst_sel:DWORD dst_unused:UNUSED_PAD src0_sel:DWORD src1_sel:WORD_1
	v_add_f16_e32 v34, v18, v86
	v_add_f16_e32 v34, v34, v87
	v_mul_f16_sdwa v99, v22, v10 dst_sel:DWORD dst_unused:UNUSED_PAD src0_sel:DWORD src1_sel:WORD_1
	v_fma_f16 v90, v22, v10, -v98
	v_fma_f16 v22, v36, v0, v20
	v_mul_f16_sdwa v20, v43, v1 dst_sel:DWORD dst_unused:UNUSED_PAD src0_sel:DWORD src1_sel:WORD_1
	v_add_f16_e32 v34, v34, v88
	v_mul_f16_sdwa v91, v21, v6 dst_sel:DWORD dst_unused:UNUSED_PAD src0_sel:DWORD src1_sel:WORD_1
	v_mul_f16_sdwa v102, v82, v12 dst_sel:DWORD dst_unused:UNUSED_PAD src0_sel:DWORD src1_sel:WORD_1
	v_fma_f16 v72, v72, v7, v93
	v_fma_f16 v93, v23, v14, -v106
	v_fma_f16 v20, v38, v1, -v20
	v_mul_f16_sdwa v21, v38, v1 dst_sel:DWORD dst_unused:UNUSED_PAD src0_sel:DWORD src1_sel:WORD_1
	v_mul_f16_sdwa v23, v39, v2 dst_sel:DWORD dst_unused:UNUSED_PAD src0_sel:DWORD src1_sel:WORD_1
	v_add_f16_e32 v38, v34, v28
	v_add_f16_e32 v34, v87, v88
	v_mul_f16_sdwa v95, v24, v8 dst_sel:DWORD dst_unused:UNUSED_PAD src0_sel:DWORD src1_sel:WORD_1
	v_mul_f16_sdwa v103, v25, v12 dst_sel:DWORD dst_unused:UNUSED_PAD src0_sel:DWORD src1_sel:WORD_1
	v_fma_f16 v71, v71, v6, v91
	v_fma_f16 v91, v25, v12, -v102
	v_fma_f16 v24, v43, v1, v21
	v_mul_f16_sdwa v21, v41, v2 dst_sel:DWORD dst_unused:UNUSED_PAD src0_sel:DWORD src1_sel:WORD_1
	v_fma_f16 v25, v41, v2, v23
	v_mul_f16_sdwa v23, v42, v3 dst_sel:DWORD dst_unused:UNUSED_PAD src0_sel:DWORD src1_sel:WORD_1
	v_mul_f16_sdwa v26, v40, v3 dst_sel:DWORD dst_unused:UNUSED_PAD src0_sel:DWORD src1_sel:WORD_1
	v_fma_f16 v34, v34, -0.5, v18
	v_sub_f16_e32 v36, v69, v72
	v_fma_f16 v21, v39, v2, -v21
	v_fma_f16 v23, v40, v3, -v23
	v_fma_f16 v26, v42, v3, v26
	v_fma_f16 v39, v36, s3, v34
	v_sub_f16_e32 v40, v70, v71
	v_sub_f16_e32 v41, v86, v87
	;; [unrolled: 1-line block ×3, first 2 shown]
	v_fma_f16 v34, v36, s5, v34
	v_fma_f16 v39, v40, s2, v39
	v_add_f16_e32 v41, v41, v42
	v_fma_f16 v34, v40, s12, v34
	v_fma_f16 v39, v41, s4, v39
	;; [unrolled: 1-line block ×3, first 2 shown]
	v_add_f16_e32 v34, v86, v28
	v_fma_f16 v18, v34, -0.5, v18
	v_fma_f16 v34, v40, s5, v18
	v_sub_f16_e32 v42, v87, v86
	v_sub_f16_e32 v43, v88, v28
	v_fma_f16 v18, v40, s3, v18
	v_add_f16_e32 v42, v42, v43
	v_fma_f16 v18, v36, s12, v18
	v_fma_f16 v40, v42, s4, v18
	v_add_f16_e32 v18, v68, v69
	v_add_f16_e32 v18, v18, v70
	v_fma_f16 v34, v36, s2, v34
	v_add_f16_e32 v18, v18, v71
	v_fma_f16 v43, v42, s4, v34
	v_add_f16_e32 v42, v18, v72
	v_add_f16_e32 v18, v70, v71
	v_fma_f16 v18, v18, -0.5, v68
	v_sub_f16_e32 v28, v86, v28
	v_fma_f16 v34, v28, s5, v18
	v_sub_f16_e32 v36, v87, v88
	v_sub_f16_e32 v85, v69, v70
	;; [unrolled: 1-line block ×3, first 2 shown]
	v_fma_f16 v18, v28, s3, v18
	v_fma_f16 v34, v36, s12, v34
	v_add_f16_e32 v85, v85, v86
	v_fma_f16 v18, v36, s2, v18
	v_fma_f16 v86, v85, s4, v34
	;; [unrolled: 1-line block ×3, first 2 shown]
	v_add_f16_e32 v18, v69, v72
	v_fma_f16 v18, v18, -0.5, v68
	v_fma_f16 v34, v36, s3, v18
	v_sub_f16_e32 v68, v70, v69
	v_sub_f16_e32 v69, v71, v72
	v_fma_f16 v18, v36, s5, v18
	v_mul_f16_sdwa v96, v78, v9 dst_sel:DWORD dst_unused:UNUSED_PAD src0_sel:DWORD src1_sel:WORD_1
	v_add_f16_e32 v68, v68, v69
	v_fma_f16 v18, v28, s2, v18
	v_mul_f16_sdwa v97, v27, v9 dst_sel:DWORD dst_unused:UNUSED_PAD src0_sel:DWORD src1_sel:WORD_1
	v_fma_f16 v27, v27, v9, -v96
	v_fma_f16 v88, v68, s4, v18
	v_add_f16_e32 v18, v19, v89
	v_mul_f16_sdwa v100, v80, v11 dst_sel:DWORD dst_unused:UNUSED_PAD src0_sel:DWORD src1_sel:WORD_1
	v_add_f16_e32 v18, v18, v27
	v_mul_f16_sdwa v101, v29, v11 dst_sel:DWORD dst_unused:UNUSED_PAD src0_sel:DWORD src1_sel:WORD_1
	v_fma_f16 v29, v29, v11, -v100
	v_add_f16_e32 v18, v18, v90
	v_fma_f16 v74, v74, v8, v95
	v_fma_f16 v80, v80, v11, v101
	v_add_f16_e32 v95, v18, v29
	v_add_f16_e32 v18, v27, v90
	v_fma_f16 v78, v78, v9, v97
	v_fma_f16 v79, v79, v10, v99
	;; [unrolled: 1-line block ×3, first 2 shown]
	v_fma_f16 v18, v18, -0.5, v19
	v_sub_f16_e32 v28, v74, v80
	v_fma_f16 v87, v68, s4, v34
	v_fma_f16 v34, v28, s3, v18
	v_sub_f16_e32 v36, v78, v79
	v_sub_f16_e32 v68, v89, v27
	;; [unrolled: 1-line block ×3, first 2 shown]
	v_fma_f16 v18, v28, s5, v18
	v_add_f16_e32 v68, v68, v69
	v_fma_f16 v18, v36, s12, v18
	v_fma_f16 v97, v68, s4, v18
	v_add_f16_e32 v18, v89, v29
	v_fma_f16 v34, v36, s2, v34
	v_fma_f16 v18, v18, -0.5, v19
	v_fma_f16 v96, v68, s4, v34
	v_fma_f16 v19, v36, s5, v18
	v_sub_f16_e32 v34, v27, v89
	v_sub_f16_e32 v68, v90, v29
	v_fma_f16 v18, v36, s3, v18
	v_add_f16_e32 v34, v34, v68
	v_fma_f16 v18, v28, s12, v18
	v_fma_f16 v99, v34, s4, v18
	v_add_f16_e32 v18, v73, v74
	v_add_f16_e32 v18, v18, v78
	;; [unrolled: 1-line block ×3, first 2 shown]
	v_fma_f16 v19, v28, s2, v19
	v_add_f16_e32 v100, v18, v80
	v_add_f16_e32 v18, v78, v79
	v_fma_f16 v98, v34, s4, v19
	v_fma_f16 v18, v18, -0.5, v73
	v_sub_f16_e32 v19, v89, v29
	v_fma_f16 v28, v19, s5, v18
	v_sub_f16_e32 v27, v27, v90
	v_sub_f16_e32 v29, v74, v78
	;; [unrolled: 1-line block ×3, first 2 shown]
	v_fma_f16 v18, v19, s3, v18
	v_add_f16_e32 v29, v29, v34
	v_fma_f16 v18, v27, s2, v18
	v_fma_f16 v90, v29, s4, v18
	v_add_f16_e32 v18, v74, v80
	v_fma_f16 v28, v27, s12, v28
	v_fma_f16 v18, v18, -0.5, v73
	v_fma_f16 v89, v29, s4, v28
	v_fma_f16 v28, v27, s3, v18
	v_sub_f16_e32 v29, v78, v74
	v_sub_f16_e32 v34, v79, v80
	v_fma_f16 v18, v27, s5, v18
	v_add_f16_e32 v29, v29, v34
	v_fma_f16 v18, v19, s2, v18
	v_fma_f16 v79, v29, s4, v18
	v_add_f16_e32 v18, v16, v91
	v_add_f16_e32 v18, v18, v92
	;; [unrolled: 1-line block ×3, first 2 shown]
	v_fma_f16 v82, v82, v12, v103
	v_add_f16_e32 v80, v18, v94
	v_add_f16_e32 v18, v92, v93
	v_fma_f16 v83, v83, v13, v105
	v_fma_f16 v28, v19, s12, v28
	v_fma_f16 v18, v18, -0.5, v16
	v_sub_f16_e32 v19, v82, v37
	v_fma_f16 v78, v29, s4, v28
	v_fma_f16 v27, v19, s3, v18
	v_sub_f16_e32 v28, v83, v84
	v_sub_f16_e32 v29, v91, v92
	;; [unrolled: 1-line block ×3, first 2 shown]
	v_fma_f16 v18, v19, s5, v18
	v_add_f16_e32 v29, v29, v34
	v_fma_f16 v18, v28, s12, v18
	v_fma_f16 v102, v29, s4, v18
	v_add_f16_e32 v18, v91, v94
	v_fma_f16 v27, v28, s2, v27
	v_fma_f16 v16, v18, -0.5, v16
	v_fma_f16 v101, v29, s4, v27
	v_fma_f16 v18, v28, s5, v16
	v_sub_f16_e32 v27, v92, v91
	v_sub_f16_e32 v29, v93, v94
	v_fma_f16 v16, v28, s3, v16
	v_add_f16_e32 v27, v27, v29
	v_fma_f16 v16, v19, s12, v16
	v_fma_f16 v104, v27, s4, v16
	v_add_f16_e32 v16, v81, v82
	v_add_f16_e32 v16, v16, v83
	;; [unrolled: 1-line block ×3, first 2 shown]
	v_fma_f16 v18, v19, s2, v18
	v_add_f16_e32 v105, v16, v37
	v_add_f16_e32 v16, v83, v84
	v_fma_f16 v103, v27, s4, v18
	v_fma_f16 v16, v16, -0.5, v81
	v_sub_f16_e32 v18, v91, v94
	v_fma_f16 v19, v18, s5, v16
	v_sub_f16_e32 v27, v92, v93
	v_sub_f16_e32 v28, v82, v83
	;; [unrolled: 1-line block ×3, first 2 shown]
	v_fma_f16 v16, v18, s3, v16
	v_add_f16_e32 v28, v28, v29
	v_fma_f16 v16, v27, s2, v16
	v_fma_f16 v92, v28, s4, v16
	v_add_f16_e32 v16, v82, v37
	v_fma_f16 v19, v27, s12, v19
	v_fma_f16 v16, v16, -0.5, v81
	v_fma_f16 v91, v28, s4, v19
	v_fma_f16 v19, v27, s3, v16
	v_sub_f16_e32 v28, v83, v82
	v_sub_f16_e32 v29, v84, v37
	v_fma_f16 v16, v27, s5, v16
	v_add_f16_e32 v28, v28, v29
	v_fma_f16 v16, v18, s2, v16
	v_fma_f16 v19, v18, s12, v19
	;; [unrolled: 1-line block ×3, first 2 shown]
	v_add_f16_e32 v16, v20, v21
	v_fma_f16 v37, v28, s4, v19
	v_fma_f16 v16, v16, -0.5, v30
	v_sub_f16_e32 v18, v22, v26
	v_sub_f16_e32 v27, v17, v20
	;; [unrolled: 1-line block ×4, first 2 shown]
	v_add_f16_e32 v27, v27, v28
	v_fma_f16 v28, v18, s5, v16
	v_fma_f16 v28, v19, s12, v28
	;; [unrolled: 1-line block ×3, first 2 shown]
	v_add_f16_e32 v28, v17, v23
	v_fma_f16 v28, v28, -0.5, v30
	v_fma_f16 v29, v19, s5, v28
	v_sub_f16_e32 v34, v20, v17
	v_sub_f16_e32 v36, v21, v23
	v_fma_f16 v28, v19, s3, v28
	v_fma_f16 v29, v18, s2, v29
	v_add_f16_e32 v34, v34, v36
	v_fma_f16 v28, v18, s12, v28
	v_add_f16_e32 v72, v22, v26
	v_fma_f16 v69, v34, s4, v29
	v_fma_f16 v70, v34, s4, v28
	v_sub_f16_e32 v34, v20, v21
	v_fma_f16 v73, v72, -0.5, v31
	v_sub_f16_e32 v29, v17, v23
	v_fma_f16 v72, v34, s3, v73
	v_sub_f16_e32 v74, v24, v22
	v_sub_f16_e32 v82, v25, v26
	v_fma_f16 v73, v34, s5, v73
	v_fma_f16 v72, v29, s12, v72
	v_add_f16_e32 v74, v74, v82
	v_fma_f16 v73, v29, s2, v73
	v_fma_f16 v72, v74, s4, v72
	;; [unrolled: 1-line block ×3, first 2 shown]
	v_add_lshl_u32 v74, v44, v45, 2
	v_pack_b32_f16 v38, v38, v42
	v_pack_b32_f16 v39, v39, v86
	ds_write2_b32 v74, v38, v39 offset1:17
	v_pack_b32_f16 v38, v43, v87
	v_pack_b32_f16 v39, v40, v88
	ds_write2_b32 v74, v38, v39 offset0:34 offset1:51
	v_pack_b32_f16 v38, v41, v85
	ds_write_b32 v74, v38 offset:272
	v_mul_u32_u24_e32 v38, 0x55, v46
	v_add_lshl_u32 v75, v38, v75, 2
	v_pack_b32_f16 v38, v95, v100
	v_pack_b32_f16 v39, v96, v89
	ds_write2_b32 v75, v38, v39 offset1:17
	v_pack_b32_f16 v38, v98, v78
	v_pack_b32_f16 v39, v99, v79
	v_add_f16_e32 v28, v24, v25
	ds_write2_b32 v75, v38, v39 offset0:34 offset1:51
	v_pack_b32_f16 v38, v97, v90
	v_fma_f16 v28, v28, -0.5, v31
	v_sub_f16_e32 v36, v22, v24
	v_sub_f16_e32 v71, v26, v25
	ds_write_b32 v75, v38 offset:272
	v_mul_u32_u24_e32 v38, 0x55, v76
	v_add_f16_e32 v36, v36, v71
	v_fma_f16 v71, v29, s3, v28
	v_add_lshl_u32 v76, v38, v77, 2
	v_pack_b32_f16 v38, v80, v105
	v_pack_b32_f16 v39, v101, v91
	v_fma_f16 v71, v34, s2, v71
	ds_write2_b32 v76, v38, v39 offset1:17
	v_pack_b32_f16 v37, v103, v37
	v_pack_b32_f16 v38, v104, v81
	v_fma_f16 v71, v36, s4, v71
	ds_write2_b32 v76, v37, v38 offset0:34 offset1:51
	v_pack_b32_f16 v37, v102, v92
	ds_write_b32 v76, v37 offset:272
	s_and_saveexec_b64 s[2:3], s[0:1]
	s_cbranch_execz .LBB0_5
; %bb.4:
	v_mul_f16_e32 v18, 0x3b9c, v18
	v_mul_f16_e32 v29, 0x3b9c, v29
	v_add_f16_e32 v22, v31, v22
	v_add_f16_e32 v17, v30, v17
	v_mul_f16_e32 v19, 0x38b4, v19
	v_mul_f16_e32 v34, 0x38b4, v34
	v_sub_f16_e32 v28, v28, v29
	v_add_f16_e32 v22, v22, v24
	v_add_f16_e32 v16, v16, v18
	;; [unrolled: 1-line block ×3, first 2 shown]
	v_mul_f16_e32 v27, 0x34f2, v27
	v_mul_f16_e32 v36, 0x34f2, v36
	v_sub_f16_e32 v28, v28, v34
	v_add_f16_e32 v22, v22, v25
	v_add_f16_e32 v16, v19, v16
	;; [unrolled: 1-line block ×3, first 2 shown]
	s_movk_i32 s4, 0x55
	v_add_f16_e32 v28, v36, v28
	v_add_f16_e32 v22, v22, v26
	;; [unrolled: 1-line block ×4, first 2 shown]
	v_mad_legacy_u16 v18, v66, s4, v67
	v_lshlrev_b32_e32 v18, 2, v18
	v_pack_b32_f16 v17, v17, v22
	v_pack_b32_f16 v16, v16, v28
	s_mov_b32 s4, 0x5040100
	ds_write2_b32 v18, v17, v16 offset1:17
	v_perm_b32 v16, v72, v69, s4
	v_perm_b32 v17, v73, v70, s4
	ds_write2_b32 v18, v16, v17 offset0:34 offset1:51
	v_perm_b32 v16, v71, v68, s4
	ds_write_b32 v18, v16 offset:272
.LBB0_5:
	s_or_b64 exec, exec, s[2:3]
	v_lshlrev_b32_e32 v28, 6, v63
	s_waitcnt lgkmcnt(0)
	s_barrier
	global_load_dwordx4 v[16:19], v28, s[14:15] offset:272
	global_load_dwordx4 v[20:23], v28, s[14:15] offset:288
	;; [unrolled: 1-line block ×3, first 2 shown]
	ds_read2_b32 v[82:83], v47 offset1:85
	ds_read2_b32 v[42:43], v47 offset0:170 offset1:255
	global_load_dwordx4 v[28:31], v28, s[14:15] offset:320
	v_add_u32_e32 v39, 0x400, v47
	v_add_u32_e32 v36, 0x600, v47
	;; [unrolled: 1-line block ×6, first 2 shown]
	ds_read_b32 v90, v47 offset:5440
	ds_read2_b32 v[44:45], v39 offset0:84 offset1:169
	ds_read2_b32 v[77:78], v36 offset0:126 offset1:211
	ds_read2_b32 v[80:81], v37 offset0:168 offset1:253
	ds_read2_b32 v[84:85], v38 offset0:82 offset1:167
	ds_read2_b32 v[86:87], v40 offset0:124 offset1:209
	ds_read2_b32 v[88:89], v41 offset0:166 offset1:251
	s_waitcnt lgkmcnt(8)
	v_lshrrev_b32_e32 v46, 16, v83
	s_waitcnt lgkmcnt(7)
	v_lshrrev_b32_e32 v79, 16, v42
	v_lshrrev_b32_e32 v91, 16, v43
	s_waitcnt lgkmcnt(5)
	v_lshrrev_b32_e32 v93, 16, v44
	s_waitcnt lgkmcnt(3)
	;; [unrolled: 2-line block ×3, first 2 shown]
	v_lshrrev_b32_e32 v99, 16, v84
	v_lshrrev_b32_e32 v100, 16, v85
	s_waitcnt lgkmcnt(1)
	v_lshrrev_b32_e32 v101, 16, v86
	v_lshrrev_b32_e32 v96, 16, v78
	;; [unrolled: 1-line block ×5, first 2 shown]
	s_waitcnt lgkmcnt(0)
	v_lshrrev_b32_e32 v103, 16, v88
	v_lshrrev_b32_e32 v98, 16, v81
	;; [unrolled: 1-line block ×4, first 2 shown]
	v_mov_b32_e32 v34, s13
	s_movk_i32 s5, 0x3b76
	s_movk_i32 s4, 0x39e9
	;; [unrolled: 1-line block ×4, first 2 shown]
	s_mov_b32 s12, 0xb461
	s_mov_b32 s13, 0xb8d2
	;; [unrolled: 1-line block ×4, first 2 shown]
	s_movk_i32 s16, 0x1000
	v_addc_co_u32_e32 v34, vcc, 0, v34, vcc
	s_movk_i32 s25, 0x2000
	s_mov_b32 s26, 0xb5c8
	s_mov_b32 s31, 0xffff
	;; [unrolled: 1-line block ×4, first 2 shown]
	s_movk_i32 s28, 0x3964
	s_mov_b32 s29, 0xbbf7
	s_movk_i32 s18, 0x3b29
	s_mov_b32 s17, 0xba62
	;; [unrolled: 2-line block ×3, first 2 shown]
	s_movk_i32 s30, 0x3a62
	s_movk_i32 s27, 0x3836
	;; [unrolled: 1-line block ×4, first 2 shown]
	s_waitcnt vmcnt(3)
	v_mul_f16_sdwa v105, v46, v16 dst_sel:DWORD dst_unused:UNUSED_PAD src0_sel:DWORD src1_sel:WORD_1
	v_mul_f16_sdwa v106, v83, v16 dst_sel:DWORD dst_unused:UNUSED_PAD src0_sel:DWORD src1_sel:WORD_1
	;; [unrolled: 1-line block ×6, first 2 shown]
	s_waitcnt vmcnt(2)
	v_mul_f16_sdwa v119, v97, v23 dst_sel:DWORD dst_unused:UNUSED_PAD src0_sel:DWORD src1_sel:WORD_1
	s_waitcnt vmcnt(1)
	v_mul_f16_sdwa v123, v99, v25 dst_sel:DWORD dst_unused:UNUSED_PAD src0_sel:DWORD src1_sel:WORD_1
	v_fma_f16 v83, v83, v16, -v105
	v_fma_f16 v105, v46, v16, v106
	v_fma_f16 v106, v42, v17, -v107
	v_mul_f16_sdwa v42, v100, v26 dst_sel:DWORD dst_unused:UNUSED_PAD src0_sel:DWORD src1_sel:WORD_1
	v_mul_f16_sdwa v112, v44, v19 dst_sel:DWORD dst_unused:UNUSED_PAD src0_sel:DWORD src1_sel:WORD_1
	;; [unrolled: 1-line block ×4, first 2 shown]
	v_fma_f16 v107, v79, v17, v108
	v_fma_f16 v108, v43, v18, -v109
	v_fma_f16 v109, v44, v19, -v111
	;; [unrolled: 1-line block ×5, first 2 shown]
	v_mul_f16_sdwa v42, v85, v26 dst_sel:DWORD dst_unused:UNUSED_PAD src0_sel:DWORD src1_sel:WORD_1
	v_mul_f16_sdwa v118, v78, v22 dst_sel:DWORD dst_unused:UNUSED_PAD src0_sel:DWORD src1_sel:WORD_1
	v_fma_f16 v85, v100, v26, v42
	v_mul_f16_sdwa v42, v101, v27 dst_sel:DWORD dst_unused:UNUSED_PAD src0_sel:DWORD src1_sel:WORD_1
	v_mul_f16_sdwa v117, v96, v22 dst_sel:DWORD dst_unused:UNUSED_PAD src0_sel:DWORD src1_sel:WORD_1
	v_fma_f16 v79, v96, v22, v118
	v_fma_f16 v96, v86, v27, -v42
	v_mul_f16_sdwa v42, v86, v27 dst_sel:DWORD dst_unused:UNUSED_PAD src0_sel:DWORD src1_sel:WORD_1
	v_mul_f16_sdwa v110, v43, v18 dst_sel:DWORD dst_unused:UNUSED_PAD src0_sel:DWORD src1_sel:WORD_1
	;; [unrolled: 1-line block ×3, first 2 shown]
	v_fma_f16 v86, v101, v27, v42
	s_waitcnt vmcnt(0)
	v_mul_f16_sdwa v42, v102, v28 dst_sel:DWORD dst_unused:UNUSED_PAD src0_sel:DWORD src1_sel:WORD_1
	v_mul_f16_sdwa v114, v45, v20 dst_sel:DWORD dst_unused:UNUSED_PAD src0_sel:DWORD src1_sel:WORD_1
	v_fma_f16 v91, v91, v18, v110
	v_fma_f16 v110, v45, v20, -v113
	v_fma_f16 v45, v97, v23, v120
	v_fma_f16 v97, v87, v28, -v42
	v_mul_f16_sdwa v42, v87, v28 dst_sel:DWORD dst_unused:UNUSED_PAD src0_sel:DWORD src1_sel:WORD_1
	v_mul_f16_sdwa v115, v95, v21 dst_sel:DWORD dst_unused:UNUSED_PAD src0_sel:DWORD src1_sel:WORD_1
	;; [unrolled: 1-line block ×3, first 2 shown]
	v_fma_f16 v87, v102, v28, v42
	v_mul_f16_sdwa v42, v103, v29 dst_sel:DWORD dst_unused:UNUSED_PAD src0_sel:DWORD src1_sel:WORD_1
	v_mul_f16_sdwa v116, v77, v21 dst_sel:DWORD dst_unused:UNUSED_PAD src0_sel:DWORD src1_sel:WORD_1
	v_mul_f16_sdwa v121, v98, v24 dst_sel:DWORD dst_unused:UNUSED_PAD src0_sel:DWORD src1_sel:WORD_1
	v_fma_f16 v111, v77, v21, -v115
	v_fma_f16 v77, v98, v24, v122
	v_fma_f16 v98, v88, v29, -v42
	v_mul_f16_sdwa v42, v88, v29 dst_sel:DWORD dst_unused:UNUSED_PAD src0_sel:DWORD src1_sel:WORD_1
	v_fma_f16 v88, v103, v29, v42
	v_mul_f16_sdwa v42, v104, v30 dst_sel:DWORD dst_unused:UNUSED_PAD src0_sel:DWORD src1_sel:WORD_1
	v_fma_f16 v46, v81, v24, -v121
	v_fma_f16 v81, v99, v25, v124
	v_fma_f16 v99, v89, v30, -v42
	v_mul_f16_sdwa v42, v89, v30 dst_sel:DWORD dst_unused:UNUSED_PAD src0_sel:DWORD src1_sel:WORD_1
	v_fma_f16 v89, v104, v30, v42
	v_mul_f16_sdwa v42, v92, v31 dst_sel:DWORD dst_unused:UNUSED_PAD src0_sel:DWORD src1_sel:WORD_1
	v_fma_f16 v100, v90, v31, -v42
	v_mul_f16_sdwa v42, v90, v31 dst_sel:DWORD dst_unused:UNUSED_PAD src0_sel:DWORD src1_sel:WORD_1
	v_add_f16_sdwa v43, v82, v105 dst_sel:DWORD dst_unused:UNUSED_PAD src0_sel:WORD_1 src1_sel:DWORD
	v_fma_f16 v90, v92, v31, v42
	v_add_f16_e32 v42, v82, v83
	v_add_f16_e32 v43, v43, v107
	v_fma_f16 v93, v93, v19, v112
	v_add_f16_e32 v42, v42, v106
	v_add_f16_e32 v43, v43, v91
	v_fma_f16 v94, v94, v20, v114
	v_add_f16_e32 v42, v42, v108
	v_add_f16_e32 v43, v43, v93
	v_fma_f16 v95, v95, v21, v116
	v_add_f16_e32 v42, v42, v109
	v_add_f16_e32 v43, v43, v94
	v_add_f16_e32 v42, v42, v110
	v_add_f16_e32 v43, v43, v95
	v_fma_f16 v78, v78, v22, -v117
	v_add_f16_e32 v42, v42, v111
	v_add_f16_e32 v43, v43, v79
	;; [unrolled: 1-line block ×22, first 2 shown]
	v_sub_f16_e32 v83, v83, v100
	v_sub_f16_e32 v90, v105, v90
	v_add_f16_e32 v42, v42, v100
	v_mul_f16_e32 v100, 0xb5c8, v90
	v_mul_f16_e32 v103, 0xb5c8, v83
	;; [unrolled: 1-line block ×16, first 2 shown]
	v_fma_f16 v102, v92, s5, -v100
	v_fma_f16 v104, v101, s5, v103
	v_fma_f16 v100, v92, s5, v100
	v_fma_f16 v103, v101, s5, -v103
	v_fma_f16 v112, v92, s4, -v105
	v_fma_f16 v114, v101, s4, v113
	v_fma_f16 v105, v92, s4, v105
	v_fma_f16 v113, v101, s4, -v113
	;; [unrolled: 4-line block ×8, first 2 shown]
	v_add_f16_e32 v92, v107, v89
	v_sub_f16_e32 v89, v107, v89
	v_add_f16_e32 v102, v82, v102
	v_add_f16_sdwa v104, v82, v104 dst_sel:DWORD dst_unused:UNUSED_PAD src0_sel:WORD_1 src1_sel:DWORD
	v_add_f16_e32 v100, v82, v100
	v_add_f16_sdwa v103, v82, v103 dst_sel:DWORD dst_unused:UNUSED_PAD src0_sel:WORD_1 src1_sel:DWORD
	;; [unrolled: 2-line block ×16, first 2 shown]
	v_add_f16_e32 v83, v106, v99
	v_mul_f16_e32 v101, 0xb964, v89
	v_sub_f16_e32 v99, v106, v99
	v_fma_f16 v106, v83, s4, -v101
	v_add_f16_e32 v102, v106, v102
	v_mul_f16_e32 v106, 0xb964, v99
	v_fma_f16 v101, v83, s4, v101
	v_add_f16_e32 v100, v101, v100
	v_fma_f16 v101, v92, s4, -v106
	v_fma_f16 v107, v92, s4, v106
	v_add_f16_e32 v101, v101, v103
	v_mul_f16_e32 v103, 0xbbf7, v89
	v_add_f16_e32 v104, v107, v104
	v_fma_f16 v106, v83, s2, -v103
	v_mul_f16_e32 v107, 0xbbf7, v99
	v_fma_f16 v103, v83, s2, v103
	v_add_f16_e32 v106, v106, v112
	v_fma_f16 v112, v92, s2, v107
	v_add_f16_e32 v103, v103, v105
	v_fma_f16 v105, v92, s2, -v107
	v_mul_f16_e32 v107, 0xba62, v89
	v_add_f16_e32 v112, v112, v114
	v_add_f16_e32 v105, v105, v113
	v_fma_f16 v113, v83, s13, -v107
	v_mul_f16_e32 v114, 0xba62, v99
	v_fma_f16 v107, v83, s13, v107
	v_add_f16_e32 v113, v113, v116
	v_fma_f16 v116, v92, s13, v114
	v_add_f16_e32 v107, v107, v115
	v_fma_f16 v114, v92, s13, -v114
	v_mul_f16_e32 v115, 0xb1e1, v89
	v_add_f16_e32 v116, v116, v118
	;; [unrolled: 10-line block ×5, first 2 shown]
	v_fma_f16 v129, v83, s3, -v127
	v_fma_f16 v127, v83, s3, v127
	v_mul_f16_e32 v89, 0x35c8, v89
	v_add_f16_e32 v128, v128, v130
	v_mul_f16_e32 v130, 0x3b29, v99
	v_add_f16_e32 v127, v127, v131
	v_fma_f16 v131, v83, s5, -v89
	v_mul_f16_e32 v99, 0x35c8, v99
	v_fma_f16 v83, v83, s5, v89
	v_add_f16_e32 v129, v129, v132
	v_fma_f16 v132, v92, s3, v130
	v_fma_f16 v130, v92, s3, -v130
	v_add_f16_e32 v83, v83, v90
	v_fma_f16 v89, v92, s5, -v99
	v_add_f16_e32 v90, v91, v88
	v_sub_f16_e32 v88, v91, v88
	v_add_f16_e32 v130, v130, v133
	v_fma_f16 v133, v92, s5, v99
	v_add_f16_e32 v82, v89, v82
	v_add_f16_e32 v89, v108, v98
	v_sub_f16_e32 v92, v108, v98
	v_mul_f16_e32 v91, 0xbb29, v88
	v_fma_f16 v98, v89, s3, -v91
	v_mul_f16_e32 v99, 0xbb29, v92
	v_fma_f16 v91, v89, s3, v91
	v_add_f16_e32 v98, v98, v102
	v_fma_f16 v102, v90, s3, v99
	v_add_f16_e32 v91, v91, v100
	v_fma_f16 v99, v90, s3, -v99
	v_mul_f16_e32 v100, 0xba62, v88
	v_add_f16_e32 v102, v102, v104
	v_add_f16_e32 v99, v99, v101
	v_fma_f16 v101, v89, s13, -v100
	v_mul_f16_e32 v104, 0xba62, v92
	v_fma_f16 v100, v89, s13, v100
	v_add_f16_e32 v101, v101, v106
	v_fma_f16 v106, v90, s13, v104
	v_add_f16_e32 v100, v100, v103
	v_fma_f16 v103, v90, s13, -v104
	v_mul_f16_e32 v104, 0x31e1, v88
	v_add_f16_e32 v103, v103, v105
	v_fma_f16 v105, v89, s15, -v104
	v_mul_f16_e32 v108, 0x31e1, v92
	v_fma_f16 v104, v89, s15, v104
	v_add_f16_e32 v106, v106, v112
	v_fma_f16 v112, v90, s15, v108
	v_add_f16_e32 v104, v104, v107
	v_fma_f16 v107, v90, s15, -v108
	v_mul_f16_e32 v108, 0x3bb2, v88
	v_add_f16_e32 v105, v105, v113
	v_fma_f16 v113, v89, s12, -v108
	v_fma_f16 v108, v89, s12, v108
	v_add_f16_e32 v107, v107, v114
	v_mul_f16_e32 v114, 0x3bb2, v92
	v_add_f16_e32 v108, v108, v115
	v_mul_f16_e32 v115, 0x3964, v88
	v_add_f16_e32 v112, v112, v116
	v_add_f16_e32 v113, v113, v117
	v_fma_f16 v116, v90, s12, v114
	v_fma_f16 v114, v90, s12, -v114
	v_fma_f16 v117, v89, s4, -v115
	v_fma_f16 v115, v89, s4, v115
	v_add_f16_e32 v114, v114, v118
	v_mul_f16_e32 v118, 0x3964, v92
	v_add_f16_e32 v115, v115, v119
	v_mul_f16_e32 v119, 0xb5c8, v88
	v_add_f16_e32 v116, v116, v120
	v_add_f16_e32 v117, v117, v121
	v_fma_f16 v120, v90, s4, v118
	v_fma_f16 v118, v90, s4, -v118
	;; [unrolled: 10-line block ×3, first 2 shown]
	v_fma_f16 v125, v89, s2, -v123
	v_fma_f16 v123, v89, s2, v123
	v_mul_f16_e32 v88, 0xb836, v88
	v_add_f16_e32 v122, v122, v126
	v_mul_f16_e32 v126, 0xbbf7, v92
	v_add_f16_e32 v123, v123, v127
	v_fma_f16 v127, v89, s14, -v88
	v_mul_f16_e32 v92, 0xb836, v92
	v_fma_f16 v88, v89, s14, v88
	v_add_f16_e32 v83, v88, v83
	v_fma_f16 v88, v90, s14, -v92
	v_add_f16_e32 v89, v93, v87
	v_sub_f16_e32 v87, v93, v87
	v_add_f16_e32 v124, v124, v128
	v_add_f16_e32 v125, v125, v129
	v_fma_f16 v128, v90, s2, v126
	v_fma_f16 v126, v90, s2, -v126
	v_fma_f16 v129, v90, s14, v92
	v_add_f16_e32 v82, v88, v82
	v_add_f16_e32 v88, v109, v97
	v_sub_f16_e32 v90, v109, v97
	v_mul_f16_e32 v92, 0xbbf7, v87
	v_fma_f16 v93, v88, s2, -v92
	v_mul_f16_e32 v97, 0xbbf7, v90
	v_fma_f16 v92, v88, s2, v92
	v_add_f16_e32 v93, v93, v98
	v_fma_f16 v98, v89, s2, v97
	v_add_f16_e32 v91, v92, v91
	v_fma_f16 v92, v89, s2, -v97
	v_mul_f16_e32 v97, 0xb1e1, v87
	v_add_f16_e32 v92, v92, v99
	v_fma_f16 v99, v88, s15, -v97
	v_add_f16_e32 v99, v99, v101
	v_mul_f16_e32 v101, 0xb1e1, v90
	v_fma_f16 v97, v88, s15, v97
	v_add_f16_e32 v98, v98, v102
	v_fma_f16 v102, v89, s15, v101
	v_add_f16_e32 v97, v97, v100
	v_fma_f16 v100, v89, s15, -v101
	v_mul_f16_e32 v101, 0x3bb2, v87
	v_add_f16_e32 v100, v100, v103
	v_fma_f16 v103, v88, s12, -v101
	v_add_f16_e32 v103, v103, v105
	v_mul_f16_e32 v105, 0x3bb2, v90
	v_fma_f16 v101, v88, s12, v101
	v_add_f16_e32 v102, v102, v106
	v_fma_f16 v106, v89, s12, v105
	v_add_f16_e32 v101, v101, v104
	v_fma_f16 v104, v89, s12, -v105
	v_mul_f16_e32 v105, 0x35c8, v87
	v_add_f16_e32 v104, v104, v107
	v_fma_f16 v107, v88, s5, -v105
	v_mul_f16_e32 v109, 0x35c8, v90
	v_fma_f16 v105, v88, s5, v105
	v_add_f16_e32 v106, v106, v112
	v_fma_f16 v112, v89, s5, v109
	v_add_f16_e32 v105, v105, v108
	v_fma_f16 v108, v89, s5, -v109
	v_mul_f16_e32 v109, 0xbb29, v87
	v_add_f16_e32 v107, v107, v113
	v_fma_f16 v113, v88, s3, -v109
	v_fma_f16 v109, v88, s3, v109
	v_add_f16_e32 v108, v108, v114
	v_mul_f16_e32 v114, 0xbb29, v90
	v_add_f16_e32 v109, v109, v115
	v_mul_f16_e32 v115, 0xb836, v87
	v_add_f16_e32 v112, v112, v116
	v_add_f16_e32 v113, v113, v117
	v_fma_f16 v116, v89, s3, v114
	v_fma_f16 v114, v89, s3, -v114
	v_fma_f16 v117, v88, s14, -v115
	v_fma_f16 v115, v88, s14, v115
	v_add_f16_e32 v114, v114, v118
	v_mul_f16_e32 v118, 0xb836, v90
	v_add_f16_e32 v115, v115, v119
	v_mul_f16_e32 v119, 0x3a62, v87
	v_add_f16_e32 v116, v116, v120
	v_add_f16_e32 v117, v117, v121
	v_fma_f16 v120, v89, s14, v118
	v_fma_f16 v118, v89, s14, -v118
	v_fma_f16 v121, v88, s13, -v119
	v_fma_f16 v119, v88, s13, v119
	v_mul_f16_e32 v87, 0x3964, v87
	v_add_f16_e32 v118, v118, v122
	v_mul_f16_e32 v122, 0x3a62, v90
	v_add_f16_e32 v119, v119, v123
	v_fma_f16 v123, v88, s4, -v87
	v_mul_f16_e32 v90, 0x3964, v90
	v_fma_f16 v87, v88, s4, v87
	v_add_f16_e32 v83, v87, v83
	v_fma_f16 v87, v89, s4, -v90
	v_add_f16_e32 v88, v94, v86
	v_sub_f16_e32 v86, v94, v86
	v_add_f16_e32 v121, v121, v125
	v_fma_f16 v125, v89, s4, v90
	v_add_f16_e32 v82, v87, v82
	v_add_f16_e32 v87, v110, v96
	v_mul_f16_e32 v90, 0xbbb2, v86
	v_add_f16_e32 v120, v120, v124
	v_fma_f16 v124, v89, s13, v122
	v_fma_f16 v122, v89, s13, -v122
	v_sub_f16_e32 v89, v110, v96
	v_fma_f16 v94, v87, s12, -v90
	v_add_f16_e32 v93, v94, v93
	v_mul_f16_e32 v94, 0xbbb2, v89
	v_fma_f16 v90, v87, s12, v90
	v_add_f16_e32 v90, v90, v91
	v_fma_f16 v91, v88, s12, -v94
	v_fma_f16 v96, v88, s12, v94
	v_add_f16_e32 v91, v91, v92
	v_mul_f16_e32 v92, 0x3836, v86
	v_add_f16_e32 v96, v96, v98
	v_fma_f16 v94, v87, s14, -v92
	v_mul_f16_e32 v98, 0x3836, v89
	v_fma_f16 v92, v87, s14, v92
	v_add_f16_e32 v94, v94, v99
	v_fma_f16 v99, v88, s14, v98
	v_add_f16_e32 v92, v92, v97
	v_fma_f16 v97, v88, s14, -v98
	v_mul_f16_e32 v98, 0x3964, v86
	v_add_f16_e32 v99, v99, v102
	v_add_f16_e32 v97, v97, v100
	v_fma_f16 v100, v87, s4, -v98
	v_mul_f16_e32 v102, 0x3964, v89
	v_fma_f16 v98, v87, s4, v98
	v_add_f16_e32 v100, v100, v103
	v_fma_f16 v103, v88, s4, v102
	v_add_f16_e32 v98, v98, v101
	v_fma_f16 v101, v88, s4, -v102
	v_mul_f16_e32 v102, 0xbb29, v86
	v_add_f16_e32 v103, v103, v106
	;; [unrolled: 10-line block ×3, first 2 shown]
	v_fma_f16 v108, v87, s15, -v106
	v_mul_f16_e32 v110, 0xb1e1, v89
	v_fma_f16 v106, v87, s15, v106
	v_add_f16_e32 v107, v107, v112
	v_fma_f16 v112, v88, s15, v110
	v_add_f16_e32 v106, v106, v109
	v_fma_f16 v109, v88, s15, -v110
	v_mul_f16_e32 v110, 0x3bf7, v86
	v_add_f16_e32 v108, v108, v113
	v_fma_f16 v113, v87, s2, -v110
	v_fma_f16 v110, v87, s2, v110
	v_add_f16_e32 v109, v109, v114
	v_mul_f16_e32 v114, 0x3bf7, v89
	v_add_f16_e32 v110, v110, v115
	v_mul_f16_e32 v115, 0xb5c8, v86
	v_add_f16_e32 v112, v112, v116
	v_add_f16_e32 v113, v113, v117
	v_fma_f16 v116, v88, s2, v114
	v_fma_f16 v114, v88, s2, -v114
	v_fma_f16 v117, v87, s5, -v115
	v_fma_f16 v115, v87, s5, v115
	v_mul_f16_e32 v86, 0xba62, v86
	v_add_f16_e32 v114, v114, v118
	v_mul_f16_e32 v118, 0xb5c8, v89
	v_add_f16_e32 v115, v115, v119
	v_fma_f16 v119, v87, s13, -v86
	v_mul_f16_e32 v89, 0xba62, v89
	v_fma_f16 v86, v87, s13, v86
	v_add_f16_e32 v83, v86, v83
	v_fma_f16 v86, v88, s13, -v89
	v_add_f16_e32 v87, v95, v85
	v_sub_f16_e32 v85, v95, v85
	v_add_f16_e32 v116, v116, v120
	v_add_f16_e32 v117, v117, v121
	v_fma_f16 v120, v88, s5, v118
	v_fma_f16 v118, v88, s5, -v118
	v_fma_f16 v121, v88, s13, v89
	v_add_f16_e32 v82, v86, v82
	v_add_f16_e32 v86, v111, v84
	v_mul_f16_e32 v88, 0xba62, v85
	v_sub_f16_e32 v84, v111, v84
	v_fma_f16 v89, v86, s13, -v88
	v_add_f16_e32 v89, v89, v93
	v_mul_f16_e32 v93, 0xba62, v84
	v_fma_f16 v88, v86, s13, v88
	v_add_f16_e32 v88, v88, v90
	v_fma_f16 v90, v87, s13, -v93
	v_add_f16_e32 v90, v90, v91
	v_mul_f16_e32 v91, 0x3bb2, v85
	v_fma_f16 v95, v87, s13, v93
	v_fma_f16 v93, v86, s12, -v91
	v_add_f16_e32 v93, v93, v94
	v_mul_f16_e32 v94, 0x3bb2, v84
	v_fma_f16 v91, v86, s12, v91
	v_add_f16_e32 v95, v95, v96
	v_fma_f16 v96, v87, s12, v94
	v_add_f16_e32 v91, v91, v92
	v_fma_f16 v92, v87, s12, -v94
	v_mul_f16_e32 v94, 0xb5c8, v85
	v_add_f16_e32 v96, v96, v99
	v_add_f16_e32 v92, v92, v97
	v_fma_f16 v97, v86, s5, -v94
	v_mul_f16_e32 v99, 0xb5c8, v84
	v_fma_f16 v94, v86, s5, v94
	v_add_f16_e32 v97, v97, v100
	v_fma_f16 v100, v87, s5, v99
	v_add_f16_e32 v94, v94, v98
	v_fma_f16 v98, v87, s5, -v99
	v_mul_f16_e32 v99, 0xb836, v85
	v_add_f16_e32 v100, v100, v103
	v_add_f16_e32 v98, v98, v101
	v_fma_f16 v101, v86, s14, -v99
	;; [unrolled: 10-line block ×3, first 2 shown]
	v_mul_f16_e32 v107, 0x3bf7, v84
	v_fma_f16 v103, v86, s2, v103
	v_add_f16_e32 v105, v105, v108
	v_fma_f16 v108, v87, s2, v107
	v_add_f16_e32 v103, v103, v106
	v_fma_f16 v106, v87, s2, -v107
	v_mul_f16_e32 v107, 0xb964, v85
	v_add_f16_e32 v106, v106, v109
	v_fma_f16 v109, v86, s4, -v107
	v_mul_f16_e32 v111, 0xb964, v84
	v_fma_f16 v107, v86, s4, v107
	v_add_f16_e32 v108, v108, v112
	v_fma_f16 v112, v87, s4, v111
	v_add_f16_e32 v107, v107, v110
	v_fma_f16 v110, v87, s4, -v111
	v_mul_f16_e32 v111, 0xb1e1, v85
	v_add_f16_e32 v109, v109, v113
	v_fma_f16 v113, v86, s15, -v111
	v_fma_f16 v111, v86, s15, v111
	v_mul_f16_e32 v85, 0x3b29, v85
	v_add_f16_e32 v110, v110, v114
	v_mul_f16_e32 v114, 0xb1e1, v84
	v_add_f16_e32 v111, v111, v115
	v_fma_f16 v115, v86, s3, -v85
	v_mul_f16_e32 v84, 0x3b29, v84
	v_fma_f16 v85, v86, s3, v85
	v_add_f16_e32 v113, v113, v117
	v_fma_f16 v117, v87, s3, v84
	v_add_f16_e32 v83, v85, v83
	v_fma_f16 v84, v87, s3, -v84
	v_add_f16_e32 v85, v79, v81
	v_sub_f16_e32 v79, v79, v81
	v_add_f16_e32 v82, v84, v82
	v_add_f16_e32 v84, v78, v80
	v_sub_f16_e32 v78, v78, v80
	v_mul_f16_e32 v80, 0xb836, v79
	v_fma_f16 v81, v84, s14, -v80
	v_mul_f16_e32 v86, 0xb836, v78
	v_fma_f16 v80, v84, s14, v80
	v_add_f16_e32 v112, v112, v116
	v_fma_f16 v116, v87, s15, v114
	v_fma_f16 v114, v87, s15, -v114
	v_fma_f16 v87, v85, s14, v86
	v_add_f16_e32 v80, v80, v88
	v_fma_f16 v86, v85, s14, -v86
	v_mul_f16_e32 v88, 0x3b29, v79
	v_add_f16_e32 v81, v81, v89
	v_add_f16_e32 v86, v86, v90
	v_fma_f16 v89, v84, s3, -v88
	v_mul_f16_e32 v90, 0x3b29, v78
	v_fma_f16 v88, v84, s3, v88
	v_add_f16_e32 v89, v89, v93
	v_fma_f16 v93, v85, s3, v90
	v_add_f16_e32 v88, v88, v91
	v_fma_f16 v90, v85, s3, -v90
	v_mul_f16_e32 v91, 0xbbf7, v79
	v_add_f16_e32 v87, v87, v95
	v_add_f16_e32 v90, v90, v92
	v_fma_f16 v92, v84, s2, -v91
	v_mul_f16_e32 v95, 0xbbf7, v78
	v_fma_f16 v91, v84, s2, v91
	v_add_f16_e32 v93, v93, v96
	v_fma_f16 v96, v85, s2, v95
	v_add_f16_e32 v91, v91, v94
	v_fma_f16 v94, v85, s2, -v95
	v_mul_f16_e32 v95, 0x3a62, v79
	v_add_f16_e32 v92, v92, v97
	v_fma_f16 v97, v84, s13, -v95
	v_fma_f16 v95, v84, s13, v95
	v_add_f16_e32 v94, v94, v98
	v_mul_f16_e32 v98, 0x3a62, v78
	v_add_f16_e32 v95, v95, v99
	v_mul_f16_e32 v99, 0xb5c8, v79
	v_add_f16_e32 v96, v96, v100
	v_add_f16_e32 v97, v97, v101
	v_fma_f16 v100, v85, s13, v98
	v_fma_f16 v98, v85, s13, -v98
	v_fma_f16 v101, v84, s5, -v99
	v_fma_f16 v99, v84, s5, v99
	v_add_f16_e32 v98, v98, v102
	v_mul_f16_e32 v102, 0xb5c8, v78
	v_add_f16_e32 v99, v99, v103
	v_mul_f16_e32 v103, 0xb1e1, v79
	v_add_f16_e32 v100, v100, v104
	v_add_f16_e32 v101, v101, v105
	v_fma_f16 v104, v85, s5, v102
	v_fma_f16 v102, v85, s5, -v102
	;; [unrolled: 10-line block ×3, first 2 shown]
	v_fma_f16 v109, v84, s4, -v107
	v_fma_f16 v107, v84, s4, v107
	v_mul_f16_e32 v79, 0xbbb2, v79
	v_add_f16_e32 v106, v106, v110
	v_mul_f16_e32 v110, 0x3964, v78
	v_add_f16_e32 v107, v107, v111
	v_fma_f16 v111, v84, s12, -v79
	v_mul_f16_e32 v78, 0xbbb2, v78
	v_fma_f16 v79, v84, s12, v79
	v_add_f16_e32 v109, v109, v113
	v_fma_f16 v113, v85, s12, v78
	v_add_f16_e32 v79, v79, v83
	v_fma_f16 v78, v85, s12, -v78
	v_add_f16_e32 v83, v45, v77
	v_sub_f16_e32 v45, v45, v77
	v_add_f16_e32 v78, v78, v82
	v_add_f16_e32 v82, v44, v46
	v_sub_f16_e32 v44, v44, v46
	v_mul_f16_e32 v46, 0xb1e1, v45
	v_fma_f16 v77, v82, s15, -v46
	v_add_f16_e32 v77, v77, v81
	v_mul_f16_e32 v81, 0xb1e1, v44
	v_fma_f16 v46, v82, s15, v46
	v_fma_f16 v84, v83, s15, v81
	v_add_f16_e32 v46, v46, v80
	v_fma_f16 v80, v83, s15, -v81
	v_mul_f16_e32 v81, 0x35c8, v45
	v_add_f16_e32 v108, v108, v112
	v_fma_f16 v112, v85, s4, v110
	v_fma_f16 v110, v85, s4, -v110
	v_add_f16_e32 v80, v80, v86
	v_fma_f16 v85, v82, s5, -v81
	v_mul_f16_e32 v86, 0x35c8, v44
	v_fma_f16 v81, v82, s5, v81
	v_add_f16_e32 v84, v84, v87
	v_fma_f16 v87, v83, s5, v86
	v_add_f16_e32 v81, v81, v88
	v_fma_f16 v86, v83, s5, -v86
	v_mul_f16_e32 v88, 0xb836, v45
	v_add_f16_e32 v85, v85, v89
	v_add_f16_e32 v86, v86, v90
	v_fma_f16 v89, v82, s14, -v88
	v_mul_f16_e32 v90, 0xb836, v44
	v_add_f16_e32 v89, v89, v92
	v_fma_f16 v92, v83, s14, v90
	v_fma_f16 v88, v82, s14, v88
	v_fma_f16 v90, v83, s14, -v90
	v_add_f16_e32 v88, v88, v91
	v_add_f16_e32 v90, v90, v94
	v_mul_f16_e32 v91, 0x3964, v45
	v_mul_f16_e32 v94, 0x3964, v44
	v_add_f16_e32 v87, v87, v93
	v_add_f16_e32 v92, v92, v96
	v_fma_f16 v93, v82, s4, -v91
	v_fma_f16 v96, v83, s4, v94
	v_fma_f16 v91, v82, s4, v91
	v_fma_f16 v94, v83, s4, -v94
	v_add_f16_e32 v132, v132, v134
	v_add_f16_e32 v91, v91, v95
	;; [unrolled: 1-line block ×3, first 2 shown]
	v_mul_f16_e32 v95, 0xba62, v45
	v_mul_f16_e32 v98, 0xba62, v44
	v_add_f16_e32 v131, v131, v135
	v_add_f16_e32 v133, v133, v136
	;; [unrolled: 1-line block ×5, first 2 shown]
	v_fma_f16 v97, v82, s13, -v95
	v_fma_f16 v100, v83, s13, v98
	v_fma_f16 v95, v82, s13, v95
	v_fma_f16 v98, v83, s13, -v98
	v_add_f16_e32 v127, v127, v131
	v_add_f16_e32 v129, v129, v133
	;; [unrolled: 1-line block ×5, first 2 shown]
	v_mul_f16_e32 v99, 0x3b29, v45
	v_mul_f16_e32 v102, 0x3b29, v44
	v_add_f16_e32 v126, v126, v130
	v_add_f16_e32 v123, v123, v127
	;; [unrolled: 1-line block ×6, first 2 shown]
	v_fma_f16 v101, v82, s3, -v99
	v_fma_f16 v104, v83, s3, v102
	v_fma_f16 v99, v82, s3, v99
	v_fma_f16 v102, v83, s3, -v102
	v_add_f16_e32 v122, v122, v126
	v_add_f16_e32 v119, v119, v123
	;; [unrolled: 1-line block ×6, first 2 shown]
	v_mul_f16_e32 v103, 0xbbb2, v45
	v_mul_f16_e32 v106, 0xbbb2, v44
	v_pack_b32_f16 v42, v42, v43
	v_pack_b32_f16 v43, v77, v84
	v_add_f16_e32 v118, v118, v122
	v_add_f16_e32 v115, v115, v119
	;; [unrolled: 1-line block ×6, first 2 shown]
	v_fma_f16 v105, v82, s12, -v103
	v_fma_f16 v108, v83, s12, v106
	v_fma_f16 v103, v82, s12, v103
	v_mul_f16_e32 v45, 0x3bf7, v45
	v_mul_f16_e32 v44, 0x3bf7, v44
	ds_write2_b32 v47, v42, v43 offset1:85
	v_pack_b32_f16 v42, v85, v87
	v_pack_b32_f16 v43, v89, v92
	v_add_f16_e32 v114, v114, v118
	v_add_f16_e32 v111, v111, v115
	v_add_f16_e32 v113, v113, v117
	v_add_f16_e32 v105, v105, v109
	v_add_f16_e32 v108, v108, v112
	v_add_f16_e32 v103, v103, v107
	v_fma_f16 v107, v82, s2, -v45
	v_fma_f16 v109, v83, s2, v44
	v_fma_f16 v45, v82, s2, v45
	v_fma_f16 v44, v83, s2, -v44
	ds_write2_b32 v47, v42, v43 offset0:170 offset1:255
	v_pack_b32_f16 v42, v93, v96
	v_pack_b32_f16 v43, v97, v100
	v_add_f16_e32 v110, v110, v114
	v_fma_f16 v106, v83, s12, -v106
	v_add_f16_e32 v107, v107, v111
	v_add_f16_e32 v109, v109, v113
	;; [unrolled: 1-line block ×4, first 2 shown]
	ds_write2_b32 v39, v42, v43 offset0:84 offset1:169
	v_pack_b32_f16 v42, v101, v104
	v_pack_b32_f16 v43, v105, v108
	v_add_f16_e32 v106, v106, v110
	ds_write2_b32 v36, v42, v43 offset0:126 offset1:211
	v_pack_b32_f16 v42, v107, v109
	v_pack_b32_f16 v43, v45, v44
	ds_write2_b32 v37, v42, v43 offset0:168 offset1:253
	v_pack_b32_f16 v42, v103, v106
	v_pack_b32_f16 v43, v99, v102
	;; [unrolled: 3-line block ×4, first 2 shown]
	ds_write2_b32 v41, v42, v43 offset0:166 offset1:251
	v_pack_b32_f16 v42, v46, v80
	ds_write_b32 v47, v42 offset:5440
	v_add_co_u32_e32 v42, vcc, s16, v33
	v_addc_co_u32_e32 v43, vcc, 0, v34, vcc
	s_waitcnt lgkmcnt(0)
	s_barrier
	global_load_dword v46, v[42:43], off offset:1684
	s_movk_i32 s16, 0x1694
	v_add_co_u32_e32 v42, vcc, s16, v33
	v_addc_co_u32_e32 v43, vcc, 0, v34, vcc
	global_load_dword v77, v[42:43], off offset:340
	global_load_dword v78, v[42:43], off offset:680
	;; [unrolled: 1-line block ×9, first 2 shown]
	ds_read2_b32 v[44:45], v47 offset1:85
	v_add_co_u32_e32 v33, vcc, s25, v33
	global_load_dword v87, v[42:43], off offset:3400
	global_load_dword v88, v[42:43], off offset:3740
	v_addc_co_u32_e32 v34, vcc, 0, v34, vcc
	s_waitcnt lgkmcnt(0)
	v_lshrrev_b32_e32 v86, 16, v44
	global_load_dword v89, v[33:34], off offset:2008
	global_load_dword v90, v[33:34], off offset:2348
	;; [unrolled: 1-line block ×4, first 2 shown]
	s_mov_b32 s16, 0xbbb2
	s_movk_i32 s25, 0x3bf7
	s_waitcnt vmcnt(15)
	v_mul_f16_sdwa v42, v86, v46 dst_sel:DWORD dst_unused:UNUSED_PAD src0_sel:DWORD src1_sel:WORD_1
	v_mul_f16_sdwa v43, v44, v46 dst_sel:DWORD dst_unused:UNUSED_PAD src0_sel:DWORD src1_sel:WORD_1
	v_fma_f16 v42, v44, v46, -v42
	v_fma_f16 v43, v86, v46, v43
	v_pack_b32_f16 v42, v42, v43
	v_lshrrev_b32_e32 v43, 16, v45
	s_waitcnt vmcnt(14)
	v_mul_f16_sdwa v44, v43, v77 dst_sel:DWORD dst_unused:UNUSED_PAD src0_sel:DWORD src1_sel:WORD_1
	v_fma_f16 v44, v45, v77, -v44
	v_mul_f16_sdwa v45, v45, v77 dst_sel:DWORD dst_unused:UNUSED_PAD src0_sel:DWORD src1_sel:WORD_1
	v_fma_f16 v43, v43, v77, v45
	v_pack_b32_f16 v43, v44, v43
	ds_write2_b32 v47, v42, v43 offset1:85
	ds_read2_b32 v[42:43], v47 offset0:170 offset1:255
	s_waitcnt lgkmcnt(0)
	v_lshrrev_b32_e32 v44, 16, v42
	s_waitcnt vmcnt(13)
	v_mul_f16_sdwa v45, v44, v78 dst_sel:DWORD dst_unused:UNUSED_PAD src0_sel:DWORD src1_sel:WORD_1
	v_fma_f16 v45, v42, v78, -v45
	v_mul_f16_sdwa v42, v42, v78 dst_sel:DWORD dst_unused:UNUSED_PAD src0_sel:DWORD src1_sel:WORD_1
	v_lshrrev_b32_e32 v46, 16, v43
	v_fma_f16 v42, v44, v78, v42
	s_waitcnt vmcnt(12)
	v_mul_f16_sdwa v44, v46, v79 dst_sel:DWORD dst_unused:UNUSED_PAD src0_sel:DWORD src1_sel:WORD_1
	v_pack_b32_f16 v42, v45, v42
	v_fma_f16 v77, v43, v79, -v44
	ds_read2_b32 v[44:45], v39 offset0:84 offset1:169
	v_mul_f16_sdwa v43, v43, v79 dst_sel:DWORD dst_unused:UNUSED_PAD src0_sel:DWORD src1_sel:WORD_1
	v_fma_f16 v43, v46, v79, v43
	v_pack_b32_f16 v43, v77, v43
	ds_write2_b32 v47, v42, v43 offset0:170 offset1:255
	s_waitcnt lgkmcnt(1)
	v_lshrrev_b32_e32 v42, 16, v44
	s_waitcnt vmcnt(11)
	v_mul_f16_sdwa v43, v42, v80 dst_sel:DWORD dst_unused:UNUSED_PAD src0_sel:DWORD src1_sel:WORD_1
	v_fma_f16 v43, v44, v80, -v43
	v_mul_f16_sdwa v44, v44, v80 dst_sel:DWORD dst_unused:UNUSED_PAD src0_sel:DWORD src1_sel:WORD_1
	v_fma_f16 v42, v42, v80, v44
	global_load_dword v44, v[33:34], off offset:3028
	v_pack_b32_f16 v42, v43, v42
	v_lshrrev_b32_e32 v43, 16, v45
	s_waitcnt vmcnt(11)
	v_mul_f16_sdwa v33, v43, v81 dst_sel:DWORD dst_unused:UNUSED_PAD src0_sel:DWORD src1_sel:WORD_1
	v_fma_f16 v46, v45, v81, -v33
	ds_read2_b32 v[33:34], v36 offset0:126 offset1:211
	v_mul_f16_sdwa v45, v45, v81 dst_sel:DWORD dst_unused:UNUSED_PAD src0_sel:DWORD src1_sel:WORD_1
	v_fma_f16 v43, v43, v81, v45
	v_pack_b32_f16 v43, v46, v43
	ds_write2_b32 v39, v42, v43 offset0:84 offset1:169
	s_waitcnt lgkmcnt(1)
	v_lshrrev_b32_e32 v42, 16, v33
	s_waitcnt vmcnt(10)
	v_mul_f16_sdwa v43, v42, v82 dst_sel:DWORD dst_unused:UNUSED_PAD src0_sel:DWORD src1_sel:WORD_1
	v_fma_f16 v43, v33, v82, -v43
	v_mul_f16_sdwa v33, v33, v82 dst_sel:DWORD dst_unused:UNUSED_PAD src0_sel:DWORD src1_sel:WORD_1
	v_lshrrev_b32_e32 v45, 16, v34
	v_fma_f16 v33, v42, v82, v33
	s_waitcnt vmcnt(9)
	v_mul_f16_sdwa v42, v45, v83 dst_sel:DWORD dst_unused:UNUSED_PAD src0_sel:DWORD src1_sel:WORD_1
	v_pack_b32_f16 v33, v43, v33
	v_fma_f16 v46, v34, v83, -v42
	ds_read2_b32 v[42:43], v37 offset0:168 offset1:253
	v_mul_f16_sdwa v34, v34, v83 dst_sel:DWORD dst_unused:UNUSED_PAD src0_sel:DWORD src1_sel:WORD_1
	v_fma_f16 v34, v45, v83, v34
	v_pack_b32_f16 v34, v46, v34
	ds_write2_b32 v36, v33, v34 offset0:126 offset1:211
	s_waitcnt lgkmcnt(1)
	v_lshrrev_b32_e32 v33, 16, v42
	s_waitcnt vmcnt(8)
	v_mul_f16_sdwa v34, v33, v84 dst_sel:DWORD dst_unused:UNUSED_PAD src0_sel:DWORD src1_sel:WORD_1
	v_fma_f16 v34, v42, v84, -v34
	v_mul_f16_sdwa v42, v42, v84 dst_sel:DWORD dst_unused:UNUSED_PAD src0_sel:DWORD src1_sel:WORD_1
	v_fma_f16 v33, v33, v84, v42
	v_lshrrev_b32_e32 v45, 16, v43
	v_pack_b32_f16 v42, v34, v33
	s_waitcnt vmcnt(7)
	v_mul_f16_sdwa v33, v45, v85 dst_sel:DWORD dst_unused:UNUSED_PAD src0_sel:DWORD src1_sel:WORD_1
	v_fma_f16 v46, v43, v85, -v33
	ds_read2_b32 v[33:34], v38 offset0:82 offset1:167
	v_mul_f16_sdwa v43, v43, v85 dst_sel:DWORD dst_unused:UNUSED_PAD src0_sel:DWORD src1_sel:WORD_1
	v_fma_f16 v43, v45, v85, v43
	v_pack_b32_f16 v43, v46, v43
	ds_write2_b32 v37, v42, v43 offset0:168 offset1:253
	s_waitcnt lgkmcnt(1)
	v_lshrrev_b32_e32 v42, 16, v33
	s_waitcnt vmcnt(6)
	v_mul_f16_sdwa v43, v42, v87 dst_sel:DWORD dst_unused:UNUSED_PAD src0_sel:DWORD src1_sel:WORD_1
	v_fma_f16 v43, v33, v87, -v43
	v_mul_f16_sdwa v33, v33, v87 dst_sel:DWORD dst_unused:UNUSED_PAD src0_sel:DWORD src1_sel:WORD_1
	v_lshrrev_b32_e32 v45, 16, v34
	v_fma_f16 v33, v42, v87, v33
	s_waitcnt vmcnt(5)
	v_mul_f16_sdwa v42, v45, v88 dst_sel:DWORD dst_unused:UNUSED_PAD src0_sel:DWORD src1_sel:WORD_1
	v_pack_b32_f16 v33, v43, v33
	v_fma_f16 v46, v34, v88, -v42
	ds_read2_b32 v[42:43], v40 offset0:124 offset1:209
	v_mul_f16_sdwa v34, v34, v88 dst_sel:DWORD dst_unused:UNUSED_PAD src0_sel:DWORD src1_sel:WORD_1
	v_fma_f16 v34, v45, v88, v34
	v_pack_b32_f16 v34, v46, v34
	ds_write2_b32 v38, v33, v34 offset0:82 offset1:167
	s_waitcnt lgkmcnt(1)
	v_lshrrev_b32_e32 v33, 16, v42
	s_waitcnt vmcnt(1)
	v_mul_f16_sdwa v34, v33, v92 dst_sel:DWORD dst_unused:UNUSED_PAD src0_sel:DWORD src1_sel:WORD_1
	v_fma_f16 v34, v42, v92, -v34
	v_mul_f16_sdwa v42, v42, v92 dst_sel:DWORD dst_unused:UNUSED_PAD src0_sel:DWORD src1_sel:WORD_1
	v_fma_f16 v33, v33, v92, v42
	v_lshrrev_b32_e32 v45, 16, v43
	v_pack_b32_f16 v42, v34, v33
	v_mul_f16_sdwa v33, v45, v89 dst_sel:DWORD dst_unused:UNUSED_PAD src0_sel:DWORD src1_sel:WORD_1
	v_fma_f16 v46, v43, v89, -v33
	ds_read2_b32 v[33:34], v41 offset0:166 offset1:251
	v_mul_f16_sdwa v43, v43, v89 dst_sel:DWORD dst_unused:UNUSED_PAD src0_sel:DWORD src1_sel:WORD_1
	v_fma_f16 v43, v45, v89, v43
	v_pack_b32_f16 v43, v46, v43
	ds_write2_b32 v40, v42, v43 offset0:124 offset1:209
	s_waitcnt lgkmcnt(1)
	v_lshrrev_b32_e32 v42, 16, v33
	v_mul_f16_sdwa v43, v42, v90 dst_sel:DWORD dst_unused:UNUSED_PAD src0_sel:DWORD src1_sel:WORD_1
	v_fma_f16 v43, v33, v90, -v43
	v_mul_f16_sdwa v33, v33, v90 dst_sel:DWORD dst_unused:UNUSED_PAD src0_sel:DWORD src1_sel:WORD_1
	v_fma_f16 v33, v42, v90, v33
	v_lshrrev_b32_e32 v42, 16, v34
	ds_read_b32 v45, v47 offset:5440
	v_pack_b32_f16 v33, v43, v33
	v_mul_f16_sdwa v43, v42, v91 dst_sel:DWORD dst_unused:UNUSED_PAD src0_sel:DWORD src1_sel:WORD_1
	v_fma_f16 v43, v34, v91, -v43
	v_mul_f16_sdwa v34, v34, v91 dst_sel:DWORD dst_unused:UNUSED_PAD src0_sel:DWORD src1_sel:WORD_1
	v_fma_f16 v34, v42, v91, v34
	v_pack_b32_f16 v34, v43, v34
	ds_write2_b32 v41, v33, v34 offset0:166 offset1:251
	s_waitcnt lgkmcnt(1)
	v_lshrrev_b32_e32 v33, 16, v45
	s_waitcnt vmcnt(0)
	v_mul_f16_sdwa v34, v33, v44 dst_sel:DWORD dst_unused:UNUSED_PAD src0_sel:DWORD src1_sel:WORD_1
	v_mul_f16_sdwa v42, v45, v44 dst_sel:DWORD dst_unused:UNUSED_PAD src0_sel:DWORD src1_sel:WORD_1
	v_fma_f16 v34, v45, v44, -v34
	v_fma_f16 v33, v33, v44, v42
	v_pack_b32_f16 v33, v34, v33
	ds_write_b32 v47, v33 offset:5440
	s_waitcnt lgkmcnt(0)
	s_barrier
	ds_read2_b32 v[33:34], v47 offset1:85
	ds_read2_b32 v[77:78], v36 offset0:126 offset1:211
	ds_read2_b32 v[79:80], v37 offset0:168 offset1:253
	;; [unrolled: 1-line block ×7, first 2 shown]
	ds_read_b32 v36, v47 offset:5440
	s_waitcnt lgkmcnt(8)
	v_pk_add_f16 v38, v33, v34
	s_waitcnt lgkmcnt(3)
	v_pk_add_f16 v38, v38, v85
	v_pk_add_f16 v38, v38, v86
	s_waitcnt lgkmcnt(1)
	v_pk_add_f16 v38, v38, v89
	v_pk_add_f16 v38, v38, v90
	v_pk_add_f16 v38, v38, v77
	v_pk_add_f16 v38, v38, v78
	v_pk_add_f16 v38, v38, v79
	v_pk_add_f16 v38, v38, v80
	v_pk_add_f16 v38, v38, v81
	v_pk_add_f16 v38, v38, v82
	v_pk_add_f16 v38, v38, v83
	v_pk_add_f16 v38, v38, v84
	v_pk_add_f16 v38, v38, v87
	v_pk_add_f16 v38, v38, v88
	s_waitcnt lgkmcnt(0)
	v_pk_add_f16 v45, v38, v36
	v_pk_add_f16 v38, v34, v36 neg_lo:[0,1] neg_hi:[0,1]
	v_pk_add_f16 v42, v36, v34
	v_pk_mul_f16 v36, v38, s26 op_sel_hi:[1,0]
	v_pk_fma_f16 v34, v42, s5, v36 op_sel:[0,0,1] op_sel_hi:[1,0,0]
	v_pk_fma_f16 v36, v42, s5, v36 op_sel:[0,0,1] op_sel_hi:[1,0,0] neg_lo:[0,0,1] neg_hi:[0,0,1]
	v_bfi_b32 v43, s31, v34, v36
	v_pk_add_f16 v46, v33, v43
	v_mul_f16_sdwa v43, v38, s24 dst_sel:DWORD dst_unused:UNUSED_PAD src0_sel:WORD_1 src1_sel:DWORD
	v_fma_f16 v44, v42, s4, v43
	v_add_f16_e32 v91, v33, v44
	v_mul_f16_sdwa v44, v42, s4 dst_sel:DWORD dst_unused:UNUSED_PAD src0_sel:WORD_1 src1_sel:DWORD
	v_fma_f16 v43, v42, s4, -v43
	v_add_f16_e32 v93, v33, v43
	v_fma_f16 v43, v38, s24, v44
	v_add_f16_sdwa v94, v33, v43 dst_sel:DWORD dst_unused:UNUSED_PAD src0_sel:WORD_1 src1_sel:DWORD
	v_mul_f16_sdwa v43, v38, s22 dst_sel:DWORD dst_unused:UNUSED_PAD src0_sel:WORD_1 src1_sel:DWORD
	v_fma_f16 v92, v38, s28, v44
	v_fma_f16 v44, v42, s3, v43
	v_add_f16_e32 v95, v33, v44
	v_mul_f16_sdwa v44, v42, s3 dst_sel:DWORD dst_unused:UNUSED_PAD src0_sel:WORD_1 src1_sel:DWORD
	v_fma_f16 v43, v42, s3, -v43
	v_add_f16_e32 v97, v33, v43
	v_fma_f16 v43, v38, s22, v44
	v_add_f16_sdwa v98, v33, v43 dst_sel:DWORD dst_unused:UNUSED_PAD src0_sel:WORD_1 src1_sel:DWORD
	v_mul_f16_sdwa v43, v38, s29 dst_sel:DWORD dst_unused:UNUSED_PAD src0_sel:WORD_1 src1_sel:DWORD
	v_fma_f16 v96, v38, s18, v44
	;; [unrolled: 9-line block ×5, first 2 shown]
	v_fma_f16 v44, v42, s14, v43
	v_add_f16_e32 v111, v33, v44
	v_mul_f16_sdwa v44, v42, s14 dst_sel:DWORD dst_unused:UNUSED_PAD src0_sel:WORD_1 src1_sel:DWORD
	v_fma_f16 v43, v42, s14, -v43
	v_pk_add_f16 v115, v88, v85
	v_pk_add_f16 v85, v85, v88 neg_lo:[0,1] neg_hi:[0,1]
	v_fma_f16 v112, v38, s27, v44
	v_add_f16_e32 v113, v33, v43
	v_fma_f16 v43, v38, s19, v44
	v_pk_mul_f16 v44, v85, s24 op_sel_hi:[1,0]
	v_add_f16_sdwa v114, v33, v43 dst_sel:DWORD dst_unused:UNUSED_PAD src0_sel:WORD_1 src1_sel:DWORD
	v_pk_fma_f16 v43, v115, s4, v44 op_sel:[0,0,1] op_sel_hi:[1,0,0]
	v_pk_fma_f16 v44, v115, s4, v44 op_sel:[0,0,1] op_sel_hi:[1,0,0] neg_lo:[0,0,1] neg_hi:[0,0,1]
	v_bfi_b32 v88, s31, v43, v44
	v_pk_add_f16 v46, v88, v46
	v_mul_f16_sdwa v88, v85, s29 dst_sel:DWORD dst_unused:UNUSED_PAD src0_sel:WORD_1 src1_sel:DWORD
	v_fma_f16 v116, v115, s2, v88
	v_add_f16_e32 v91, v116, v91
	v_mul_f16_sdwa v116, v115, s2 dst_sel:DWORD dst_unused:UNUSED_PAD src0_sel:WORD_1 src1_sel:DWORD
	v_fma_f16 v88, v115, s2, -v88
	v_add_f16_e32 v88, v88, v93
	v_fma_f16 v93, v85, s29, v116
	v_add_f16_e32 v93, v93, v94
	v_mul_f16_sdwa v94, v85, s17 dst_sel:DWORD dst_unused:UNUSED_PAD src0_sel:WORD_1 src1_sel:DWORD
	v_fma_f16 v117, v85, s25, v116
	v_fma_f16 v116, v115, s13, v94
	v_add_f16_e32 v95, v116, v95
	v_mul_f16_sdwa v116, v115, s13 dst_sel:DWORD dst_unused:UNUSED_PAD src0_sel:WORD_1 src1_sel:DWORD
	v_fma_f16 v94, v115, s13, -v94
	v_add_f16_e32 v94, v94, v97
	v_fma_f16 v97, v85, s17, v116
	v_add_f16_sdwa v92, v33, v92 dst_sel:DWORD dst_unused:UNUSED_PAD src0_sel:WORD_1 src1_sel:DWORD
	v_add_f16_e32 v97, v97, v98
	v_mul_f16_sdwa v98, v85, s20 dst_sel:DWORD dst_unused:UNUSED_PAD src0_sel:WORD_1 src1_sel:DWORD
	v_add_f16_e32 v92, v117, v92
	v_fma_f16 v117, v85, s30, v116
	v_fma_f16 v116, v115, s15, v98
	v_add_f16_e32 v99, v116, v99
	v_mul_f16_sdwa v116, v115, s15 dst_sel:DWORD dst_unused:UNUSED_PAD src0_sel:WORD_1 src1_sel:DWORD
	v_fma_f16 v98, v115, s15, -v98
	v_add_f16_e32 v98, v98, v101
	v_fma_f16 v101, v85, s20, v116
	v_add_f16_sdwa v96, v33, v96 dst_sel:DWORD dst_unused:UNUSED_PAD src0_sel:WORD_1 src1_sel:DWORD
	v_add_f16_e32 v101, v101, v102
	v_mul_f16_sdwa v102, v85, s27 dst_sel:DWORD dst_unused:UNUSED_PAD src0_sel:WORD_1 src1_sel:DWORD
	v_add_f16_e32 v96, v117, v96
	;; [unrolled: 11-line block ×4, first 2 shown]
	v_fma_f16 v117, v85, s16, v116
	v_fma_f16 v116, v115, s3, v110
	v_add_f16_e32 v111, v116, v111
	v_mul_f16_sdwa v116, v115, s3 dst_sel:DWORD dst_unused:UNUSED_PAD src0_sel:WORD_1 src1_sel:DWORD
	v_fma_f16 v110, v115, s3, -v110
	v_add_f16_e32 v110, v110, v113
	v_fma_f16 v113, v85, s18, v116
	v_add_f16_e32 v113, v113, v114
	v_pk_add_f16 v114, v87, v86
	v_pk_add_f16 v86, v86, v87 neg_lo:[0,1] neg_hi:[0,1]
	v_add_f16_sdwa v108, v33, v108 dst_sel:DWORD dst_unused:UNUSED_PAD src0_sel:WORD_1 src1_sel:DWORD
	v_pk_mul_f16 v87, v86, s22 op_sel_hi:[1,0]
	v_add_f16_sdwa v112, v33, v112 dst_sel:DWORD dst_unused:UNUSED_PAD src0_sel:WORD_1 src1_sel:DWORD
	v_add_f16_e32 v108, v117, v108
	v_fma_f16 v117, v85, s22, v116
	v_pk_fma_f16 v116, v114, s3, v87 op_sel:[0,0,1] op_sel_hi:[1,0,0]
	v_pk_fma_f16 v87, v114, s3, v87 op_sel:[0,0,1] op_sel_hi:[1,0,0] neg_lo:[0,0,1] neg_hi:[0,0,1]
	v_add_f16_e32 v112, v117, v112
	v_bfi_b32 v117, s31, v116, v87
	v_pk_add_f16 v46, v117, v46
	v_mul_f16_sdwa v117, v86, s17 dst_sel:DWORD dst_unused:UNUSED_PAD src0_sel:WORD_1 src1_sel:DWORD
	v_fma_f16 v118, v114, s13, v117
	v_add_f16_e32 v91, v118, v91
	v_mul_f16_sdwa v118, v114, s13 dst_sel:DWORD dst_unused:UNUSED_PAD src0_sel:WORD_1 src1_sel:DWORD
	v_fma_f16 v117, v114, s13, -v117
	v_add_f16_e32 v88, v117, v88
	v_fma_f16 v117, v86, s17, v118
	v_add_f16_e32 v93, v117, v93
	v_mul_f16_sdwa v117, v86, s33 dst_sel:DWORD dst_unused:UNUSED_PAD src0_sel:WORD_1 src1_sel:DWORD
	v_fma_f16 v119, v86, s30, v118
	v_fma_f16 v118, v114, s15, v117
	v_add_f16_e32 v95, v118, v95
	v_mul_f16_sdwa v118, v114, s15 dst_sel:DWORD dst_unused:UNUSED_PAD src0_sel:WORD_1 src1_sel:DWORD
	v_fma_f16 v117, v114, s15, -v117
	v_add_f16_e32 v94, v117, v94
	v_fma_f16 v117, v86, s33, v118
	v_add_f16_e32 v97, v117, v97
	v_mul_f16_sdwa v117, v86, s23 dst_sel:DWORD dst_unused:UNUSED_PAD src0_sel:WORD_1 src1_sel:DWORD
	v_add_f16_e32 v92, v119, v92
	v_fma_f16 v119, v86, s20, v118
	v_fma_f16 v118, v114, s12, v117
	v_add_f16_e32 v99, v118, v99
	v_mul_f16_sdwa v118, v114, s12 dst_sel:DWORD dst_unused:UNUSED_PAD src0_sel:WORD_1 src1_sel:DWORD
	v_fma_f16 v117, v114, s12, -v117
	v_add_f16_e32 v98, v117, v98
	v_fma_f16 v117, v86, s23, v118
	v_add_f16_e32 v101, v117, v101
	v_mul_f16_sdwa v117, v86, s28 dst_sel:DWORD dst_unused:UNUSED_PAD src0_sel:WORD_1 src1_sel:DWORD
	v_add_f16_e32 v96, v119, v96
	v_fma_f16 v119, v86, s16, v118
	v_fma_f16 v118, v114, s4, v117
	v_add_f16_e32 v103, v118, v103
	v_mul_f16_sdwa v118, v114, s4 dst_sel:DWORD dst_unused:UNUSED_PAD src0_sel:WORD_1 src1_sel:DWORD
	v_fma_f16 v117, v114, s4, -v117
	v_add_f16_e32 v102, v117, v102
	v_fma_f16 v117, v86, s28, v118
	v_add_f16_e32 v105, v117, v105
	v_mul_f16_sdwa v117, v86, s26 dst_sel:DWORD dst_unused:UNUSED_PAD src0_sel:WORD_1 src1_sel:DWORD
	v_add_f16_e32 v100, v119, v100
	v_fma_f16 v119, v86, s24, v118
	v_fma_f16 v118, v114, s5, v117
	v_add_f16_e32 v107, v118, v107
	v_mul_f16_sdwa v118, v114, s5 dst_sel:DWORD dst_unused:UNUSED_PAD src0_sel:WORD_1 src1_sel:DWORD
	v_fma_f16 v117, v114, s5, -v117
	v_add_f16_e32 v106, v117, v106
	v_fma_f16 v117, v86, s26, v118
	v_add_f16_e32 v109, v117, v109
	v_mul_f16_sdwa v117, v86, s29 dst_sel:DWORD dst_unused:UNUSED_PAD src0_sel:WORD_1 src1_sel:DWORD
	v_add_f16_e32 v104, v119, v104
	v_fma_f16 v119, v86, s21, v118
	v_fma_f16 v118, v114, s2, v117
	v_add_f16_e32 v111, v118, v111
	v_mul_f16_sdwa v118, v114, s2 dst_sel:DWORD dst_unused:UNUSED_PAD src0_sel:WORD_1 src1_sel:DWORD
	v_fma_f16 v117, v114, s2, -v117
	v_add_f16_e32 v110, v117, v110
	v_fma_f16 v117, v86, s29, v118
	v_add_f16_e32 v113, v117, v113
	v_pk_add_f16 v117, v84, v89
	v_pk_add_f16 v84, v89, v84 neg_lo:[0,1] neg_hi:[0,1]
	v_pk_mul_f16 v89, v84, s29 op_sel_hi:[1,0]
	v_add_f16_e32 v108, v119, v108
	v_fma_f16 v119, v86, s25, v118
	v_pk_fma_f16 v118, v117, s2, v89 op_sel:[0,0,1] op_sel_hi:[1,0,0]
	v_pk_fma_f16 v89, v117, s2, v89 op_sel:[0,0,1] op_sel_hi:[1,0,0] neg_lo:[0,0,1] neg_hi:[0,0,1]
	v_add_f16_e32 v112, v119, v112
	v_bfi_b32 v119, s31, v118, v89
	v_pk_add_f16 v46, v119, v46
	v_mul_f16_sdwa v119, v84, s20 dst_sel:DWORD dst_unused:UNUSED_PAD src0_sel:WORD_1 src1_sel:DWORD
	v_fma_f16 v120, v117, s15, v119
	v_add_f16_e32 v91, v120, v91
	v_mul_f16_sdwa v120, v117, s15 dst_sel:DWORD dst_unused:UNUSED_PAD src0_sel:WORD_1 src1_sel:DWORD
	v_fma_f16 v119, v117, s15, -v119
	v_add_f16_e32 v88, v119, v88
	v_fma_f16 v119, v84, s20, v120
	v_add_f16_e32 v93, v119, v93
	v_mul_f16_sdwa v119, v84, s23 dst_sel:DWORD dst_unused:UNUSED_PAD src0_sel:WORD_1 src1_sel:DWORD
	v_fma_f16 v121, v84, s33, v120
	v_fma_f16 v120, v117, s12, v119
	v_add_f16_e32 v95, v120, v95
	v_mul_f16_sdwa v120, v117, s12 dst_sel:DWORD dst_unused:UNUSED_PAD src0_sel:WORD_1 src1_sel:DWORD
	v_fma_f16 v119, v117, s12, -v119
	v_add_f16_e32 v94, v119, v94
	v_fma_f16 v119, v84, s23, v120
	v_add_f16_e32 v97, v119, v97
	v_mul_f16_sdwa v119, v84, s21 dst_sel:DWORD dst_unused:UNUSED_PAD src0_sel:WORD_1 src1_sel:DWORD
	v_add_f16_e32 v92, v121, v92
	v_fma_f16 v121, v84, s16, v120
	v_fma_f16 v120, v117, s5, v119
	v_add_f16_e32 v99, v120, v99
	v_mul_f16_sdwa v120, v117, s5 dst_sel:DWORD dst_unused:UNUSED_PAD src0_sel:WORD_1 src1_sel:DWORD
	v_fma_f16 v119, v117, s5, -v119
	v_add_f16_e32 v98, v119, v98
	v_fma_f16 v119, v84, s21, v120
	v_add_f16_e32 v101, v119, v101
	v_mul_f16_sdwa v119, v84, s22 dst_sel:DWORD dst_unused:UNUSED_PAD src0_sel:WORD_1 src1_sel:DWORD
	v_add_f16_e32 v96, v121, v96
	;; [unrolled: 10-line block ×4, first 2 shown]
	v_fma_f16 v121, v84, s27, v120
	v_fma_f16 v120, v117, s13, v119
	v_add_f16_e32 v111, v120, v111
	v_mul_f16_sdwa v120, v117, s13 dst_sel:DWORD dst_unused:UNUSED_PAD src0_sel:WORD_1 src1_sel:DWORD
	v_fma_f16 v119, v117, s13, -v119
	v_add_f16_e32 v110, v119, v110
	v_fma_f16 v119, v84, s30, v120
	v_add_f16_e32 v113, v119, v113
	v_pk_add_f16 v119, v83, v90
	v_pk_add_f16 v83, v90, v83 neg_lo:[0,1] neg_hi:[0,1]
	v_pk_mul_f16 v90, v83, s16 op_sel_hi:[1,0]
	v_add_f16_e32 v108, v121, v108
	v_fma_f16 v121, v84, s17, v120
	v_pk_fma_f16 v120, v119, s12, v90 op_sel:[0,0,1] op_sel_hi:[1,0,0]
	v_pk_fma_f16 v90, v119, s12, v90 op_sel:[0,0,1] op_sel_hi:[1,0,0] neg_lo:[0,0,1] neg_hi:[0,0,1]
	v_add_f16_e32 v112, v121, v112
	v_bfi_b32 v121, s31, v120, v90
	v_pk_add_f16 v46, v121, v46
	v_mul_f16_sdwa v121, v83, s27 dst_sel:DWORD dst_unused:UNUSED_PAD src0_sel:WORD_1 src1_sel:DWORD
	v_fma_f16 v122, v119, s14, v121
	v_add_f16_e32 v91, v122, v91
	v_mul_f16_sdwa v122, v119, s14 dst_sel:DWORD dst_unused:UNUSED_PAD src0_sel:WORD_1 src1_sel:DWORD
	v_fma_f16 v121, v119, s14, -v121
	v_add_f16_e32 v88, v121, v88
	v_fma_f16 v121, v83, s27, v122
	v_add_f16_e32 v93, v121, v93
	v_mul_f16_sdwa v121, v83, s28 dst_sel:DWORD dst_unused:UNUSED_PAD src0_sel:WORD_1 src1_sel:DWORD
	v_fma_f16 v123, v83, s19, v122
	v_fma_f16 v122, v119, s4, v121
	v_add_f16_e32 v95, v122, v95
	v_mul_f16_sdwa v122, v119, s4 dst_sel:DWORD dst_unused:UNUSED_PAD src0_sel:WORD_1 src1_sel:DWORD
	v_fma_f16 v121, v119, s4, -v121
	v_add_f16_e32 v94, v121, v94
	v_fma_f16 v121, v83, s28, v122
	v_add_f16_e32 v97, v121, v97
	v_mul_f16_sdwa v121, v83, s22 dst_sel:DWORD dst_unused:UNUSED_PAD src0_sel:WORD_1 src1_sel:DWORD
	v_add_f16_e32 v92, v123, v92
	v_fma_f16 v123, v83, s24, v122
	v_fma_f16 v122, v119, s3, v121
	v_add_f16_e32 v99, v122, v99
	v_mul_f16_sdwa v122, v119, s3 dst_sel:DWORD dst_unused:UNUSED_PAD src0_sel:WORD_1 src1_sel:DWORD
	v_fma_f16 v121, v119, s3, -v121
	v_add_f16_e32 v98, v121, v98
	v_fma_f16 v121, v83, s22, v122
	v_add_f16_e32 v101, v121, v101
	v_mul_f16_sdwa v121, v83, s20 dst_sel:DWORD dst_unused:UNUSED_PAD src0_sel:WORD_1 src1_sel:DWORD
	v_add_f16_e32 v96, v123, v96
	;; [unrolled: 10-line block ×4, first 2 shown]
	v_fma_f16 v123, v83, s29, v122
	v_fma_f16 v122, v119, s5, v121
	v_add_f16_e32 v111, v122, v111
	v_mul_f16_sdwa v122, v119, s5 dst_sel:DWORD dst_unused:UNUSED_PAD src0_sel:WORD_1 src1_sel:DWORD
	v_fma_f16 v121, v119, s5, -v121
	v_add_f16_e32 v110, v121, v110
	v_fma_f16 v121, v83, s26, v122
	v_add_f16_e32 v113, v121, v113
	v_pk_add_f16 v121, v82, v77
	v_pk_add_f16 v82, v77, v82 neg_lo:[0,1] neg_hi:[0,1]
	v_add_f16_e32 v108, v123, v108
	v_fma_f16 v123, v83, s21, v122
	v_pk_mul_f16 v77, v82, s17 op_sel_hi:[1,0]
	v_add_f16_e32 v112, v123, v112
	v_pk_fma_f16 v122, v121, s13, v77 op_sel:[0,0,1] op_sel_hi:[1,0,0]
	v_pk_fma_f16 v123, v121, s13, v77 op_sel:[0,0,1] op_sel_hi:[1,0,0] neg_lo:[0,0,1] neg_hi:[0,0,1]
	v_bfi_b32 v77, s31, v122, v123
	v_pk_add_f16 v46, v77, v46
	v_mul_f16_sdwa v77, v82, s23 dst_sel:DWORD dst_unused:UNUSED_PAD src0_sel:WORD_1 src1_sel:DWORD
	v_fma_f16 v124, v121, s12, v77
	v_add_f16_e32 v91, v124, v91
	v_mul_f16_sdwa v124, v121, s12 dst_sel:DWORD dst_unused:UNUSED_PAD src0_sel:WORD_1 src1_sel:DWORD
	v_fma_f16 v77, v121, s12, -v77
	v_add_f16_e32 v77, v77, v88
	v_fma_f16 v88, v82, s23, v124
	v_add_f16_e32 v88, v88, v93
	v_mul_f16_sdwa v93, v82, s26 dst_sel:DWORD dst_unused:UNUSED_PAD src0_sel:WORD_1 src1_sel:DWORD
	v_fma_f16 v125, v82, s16, v124
	v_fma_f16 v124, v121, s5, v93
	v_add_f16_e32 v95, v124, v95
	v_mul_f16_sdwa v124, v121, s5 dst_sel:DWORD dst_unused:UNUSED_PAD src0_sel:WORD_1 src1_sel:DWORD
	v_fma_f16 v93, v121, s5, -v93
	v_add_f16_e32 v93, v93, v94
	v_fma_f16 v94, v82, s26, v124
	v_add_f16_e32 v94, v94, v97
	v_mul_f16_sdwa v97, v82, s19 dst_sel:DWORD dst_unused:UNUSED_PAD src0_sel:WORD_1 src1_sel:DWORD
	v_add_f16_e32 v92, v125, v92
	v_fma_f16 v125, v82, s21, v124
	v_fma_f16 v124, v121, s14, v97
	v_add_f16_e32 v99, v124, v99
	v_mul_f16_sdwa v124, v121, s14 dst_sel:DWORD dst_unused:UNUSED_PAD src0_sel:WORD_1 src1_sel:DWORD
	v_fma_f16 v97, v121, s14, -v97
	v_add_f16_e32 v97, v97, v98
	v_fma_f16 v98, v82, s19, v124
	v_add_f16_e32 v98, v98, v101
	v_mul_f16_sdwa v101, v82, s25 dst_sel:DWORD dst_unused:UNUSED_PAD src0_sel:WORD_1 src1_sel:DWORD
	v_add_f16_e32 v96, v125, v96
	;; [unrolled: 10-line block ×4, first 2 shown]
	v_fma_f16 v125, v82, s28, v124
	v_fma_f16 v124, v121, s15, v109
	v_add_f16_e32 v111, v124, v111
	v_mul_f16_sdwa v124, v121, s15 dst_sel:DWORD dst_unused:UNUSED_PAD src0_sel:WORD_1 src1_sel:DWORD
	v_fma_f16 v109, v121, s15, -v109
	v_add_f16_e32 v109, v109, v110
	v_fma_f16 v110, v82, s20, v124
	v_add_f16_e32 v110, v110, v113
	v_pk_add_f16 v113, v81, v78
	v_pk_add_f16 v81, v78, v81 neg_lo:[0,1] neg_hi:[0,1]
	v_add_f16_e32 v108, v125, v108
	v_fma_f16 v125, v82, s33, v124
	v_pk_mul_f16 v78, v81, s19 op_sel_hi:[1,0]
	v_add_f16_e32 v112, v125, v112
	v_pk_fma_f16 v124, v113, s14, v78 op_sel:[0,0,1] op_sel_hi:[1,0,0]
	v_pk_fma_f16 v125, v113, s14, v78 op_sel:[0,0,1] op_sel_hi:[1,0,0] neg_lo:[0,0,1] neg_hi:[0,0,1]
	v_bfi_b32 v78, s31, v124, v125
	v_pk_add_f16 v46, v78, v46
	v_mul_f16_sdwa v78, v81, s18 dst_sel:DWORD dst_unused:UNUSED_PAD src0_sel:WORD_1 src1_sel:DWORD
	v_fma_f16 v126, v113, s3, v78
	v_add_f16_e32 v91, v126, v91
	v_mul_f16_sdwa v126, v113, s3 dst_sel:DWORD dst_unused:UNUSED_PAD src0_sel:WORD_1 src1_sel:DWORD
	v_fma_f16 v78, v113, s3, -v78
	v_add_f16_e32 v77, v78, v77
	v_fma_f16 v78, v81, s18, v126
	v_add_f16_e32 v78, v78, v88
	v_mul_f16_sdwa v88, v81, s29 dst_sel:DWORD dst_unused:UNUSED_PAD src0_sel:WORD_1 src1_sel:DWORD
	v_fma_f16 v127, v81, s22, v126
	v_fma_f16 v126, v113, s2, v88
	v_add_f16_e32 v95, v126, v95
	v_mul_f16_sdwa v126, v113, s2 dst_sel:DWORD dst_unused:UNUSED_PAD src0_sel:WORD_1 src1_sel:DWORD
	v_fma_f16 v88, v113, s2, -v88
	v_add_f16_e32 v88, v88, v93
	v_fma_f16 v93, v81, s29, v126
	v_add_f16_e32 v93, v93, v94
	v_mul_f16_sdwa v94, v81, s30 dst_sel:DWORD dst_unused:UNUSED_PAD src0_sel:WORD_1 src1_sel:DWORD
	v_add_f16_e32 v92, v127, v92
	v_fma_f16 v127, v81, s25, v126
	v_fma_f16 v126, v113, s13, v94
	v_add_f16_e32 v99, v126, v99
	v_mul_f16_sdwa v126, v113, s13 dst_sel:DWORD dst_unused:UNUSED_PAD src0_sel:WORD_1 src1_sel:DWORD
	v_fma_f16 v94, v113, s13, -v94
	v_add_f16_e32 v94, v94, v97
	v_fma_f16 v97, v81, s30, v126
	v_add_f16_e32 v97, v97, v98
	v_mul_f16_sdwa v98, v81, s26 dst_sel:DWORD dst_unused:UNUSED_PAD src0_sel:WORD_1 src1_sel:DWORD
	v_add_f16_e32 v96, v127, v96
	;; [unrolled: 10-line block ×4, first 2 shown]
	v_fma_f16 v127, v81, s33, v126
	v_fma_f16 v126, v113, s4, v106
	v_add_f16_e32 v111, v126, v111
	v_mul_f16_sdwa v126, v113, s4 dst_sel:DWORD dst_unused:UNUSED_PAD src0_sel:WORD_1 src1_sel:DWORD
	v_fma_f16 v106, v113, s4, -v106
	v_add_f16_e32 v106, v106, v109
	v_fma_f16 v109, v81, s28, v126
	v_add_f16_e32 v109, v109, v110
	v_pk_add_f16 v110, v80, v79
	v_pk_add_f16 v79, v79, v80 neg_lo:[0,1] neg_hi:[0,1]
	v_pk_mul_f16 v80, v79, s20 op_sel_hi:[1,0]
	v_add_f16_e32 v108, v127, v108
	v_fma_f16 v127, v81, s24, v126
	v_pk_fma_f16 v126, v110, s15, v80 op_sel:[0,0,1] op_sel_hi:[1,0,0]
	v_pk_fma_f16 v80, v110, s15, v80 op_sel:[0,0,1] op_sel_hi:[1,0,0] neg_lo:[0,0,1] neg_hi:[0,0,1]
	v_add_f16_e32 v112, v127, v112
	v_bfi_b32 v127, s31, v126, v80
	v_pk_add_f16 v46, v127, v46
	v_mul_f16_sdwa v127, v79, s21 dst_sel:DWORD dst_unused:UNUSED_PAD src0_sel:WORD_1 src1_sel:DWORD
	v_fma_f16 v128, v110, s5, v127
	v_add_f16_e32 v91, v128, v91
	v_mul_f16_sdwa v128, v110, s5 dst_sel:DWORD dst_unused:UNUSED_PAD src0_sel:WORD_1 src1_sel:DWORD
	v_fma_f16 v127, v110, s5, -v127
	v_add_f16_e32 v77, v127, v77
	v_fma_f16 v127, v79, s21, v128
	v_add_f16_e32 v78, v127, v78
	v_mul_f16_sdwa v127, v79, s19 dst_sel:DWORD dst_unused:UNUSED_PAD src0_sel:WORD_1 src1_sel:DWORD
	v_fma_f16 v129, v79, s26, v128
	v_fma_f16 v128, v110, s14, v127
	v_add_f16_e32 v95, v128, v95
	v_mul_f16_sdwa v128, v110, s14 dst_sel:DWORD dst_unused:UNUSED_PAD src0_sel:WORD_1 src1_sel:DWORD
	v_fma_f16 v127, v110, s14, -v127
	v_add_f16_e32 v88, v127, v88
	v_fma_f16 v127, v79, s19, v128
	v_add_f16_e32 v93, v127, v93
	v_mul_f16_sdwa v127, v79, s28 dst_sel:DWORD dst_unused:UNUSED_PAD src0_sel:WORD_1 src1_sel:DWORD
	v_add_f16_e32 v92, v129, v92
	v_fma_f16 v129, v79, s27, v128
	v_fma_f16 v128, v110, s4, v127
	v_add_f16_e32 v99, v128, v99
	v_mul_f16_sdwa v128, v110, s4 dst_sel:DWORD dst_unused:UNUSED_PAD src0_sel:WORD_1 src1_sel:DWORD
	v_fma_f16 v127, v110, s4, -v127
	v_add_f16_e32 v94, v127, v94
	v_fma_f16 v127, v79, s28, v128
	v_add_f16_e32 v97, v127, v97
	v_mul_f16_sdwa v127, v79, s17 dst_sel:DWORD dst_unused:UNUSED_PAD src0_sel:WORD_1 src1_sel:DWORD
	v_add_f16_e32 v96, v129, v96
	;; [unrolled: 10-line block ×4, first 2 shown]
	v_fma_f16 v129, v79, s22, v128
	v_fma_f16 v128, v110, s12, v127
	v_add_f16_e32 v111, v128, v111
	v_mul_f16_sdwa v128, v110, s12 dst_sel:DWORD dst_unused:UNUSED_PAD src0_sel:WORD_1 src1_sel:DWORD
	v_add_f16_e32 v108, v129, v108
	v_fma_f16 v129, v79, s23, v128
	s_barrier
	ds_write2_b32 v35, v45, v46 offset1:1
	v_pack_b32_f16 v45, v95, v96
	v_pack_b32_f16 v46, v91, v92
	v_add_f16_e32 v112, v129, v112
	ds_write2_b32 v35, v46, v45 offset0:2 offset1:3
	v_pack_b32_f16 v45, v103, v104
	v_pack_b32_f16 v46, v99, v100
	ds_write2_b32 v35, v46, v45 offset0:4 offset1:5
	v_pack_b32_f16 v45, v111, v112
	v_pack_b32_f16 v46, v107, v108
	v_pk_mul_f16 v42, v42, s15 op_sel_hi:[1,0]
	ds_write2_b32 v35, v46, v45 offset0:6 offset1:7
	v_pk_fma_f16 v45, v38, s20, v42 op_sel:[0,0,1] op_sel_hi:[1,0,0]
	v_pk_fma_f16 v38, v38, s20, v42 op_sel:[0,0,1] op_sel_hi:[1,0,0] neg_lo:[1,0,0] neg_hi:[1,0,0]
	v_alignbit_b32 v42, s0, v33, 16
	v_alignbit_b32 v46, s0, v45, 16
	v_pk_add_f16 v42, v42, v45
	v_pk_mul_f16 v45, v115, s5 op_sel_hi:[1,0]
	v_pk_add_f16 v38, v33, v38 op_sel:[1,0] op_sel_hi:[0,1]
	v_pk_fma_f16 v91, v85, s21, v45 op_sel:[0,0,1] op_sel_hi:[1,0,0]
	v_pk_fma_f16 v45, v85, s21, v45 op_sel:[0,0,1] op_sel_hi:[1,0,0] neg_lo:[1,0,0] neg_hi:[1,0,0]
	v_pk_add_f16 v38, v45, v38
	v_pk_mul_f16 v45, v114, s14 op_sel_hi:[1,0]
	v_pk_fma_f16 v85, v86, s19, v45 op_sel:[0,0,1] op_sel_hi:[1,0,0]
	v_pk_fma_f16 v45, v86, s19, v45 op_sel:[0,0,1] op_sel_hi:[1,0,0] neg_lo:[1,0,0] neg_hi:[1,0,0]
	v_pk_add_f16 v42, v91, v42
	v_pk_add_f16 v38, v45, v38
	v_pk_mul_f16 v45, v117, s4 op_sel_hi:[1,0]
	v_alignbit_b32 v92, s0, v91, 16
	v_alignbit_b32 v91, s0, v85, 16
	v_pk_add_f16 v42, v85, v42
	v_pk_fma_f16 v85, v84, s28, v45 op_sel:[0,0,1] op_sel_hi:[1,0,0]
	v_pk_fma_f16 v45, v84, s28, v45 op_sel:[0,0,1] op_sel_hi:[1,0,0] neg_lo:[1,0,0] neg_hi:[1,0,0]
	v_pk_add_f16 v38, v45, v38
	v_pk_mul_f16 v45, v119, s13 op_sel_hi:[1,0]
	v_pk_fma_f16 v84, v83, s17, v45 op_sel:[0,0,1] op_sel_hi:[1,0,0]
	v_pk_fma_f16 v45, v83, s17, v45 op_sel:[0,0,1] op_sel_hi:[1,0,0] neg_lo:[1,0,0] neg_hi:[1,0,0]
	v_pk_add_f16 v46, v33, v46
	v_pk_add_f16 v38, v45, v38
	v_pk_mul_f16 v45, v121, s3 op_sel_hi:[1,0]
	v_pk_add_f16 v46, v92, v46
	v_pk_fma_f16 v83, v82, s18, v45 op_sel:[0,0,1] op_sel_hi:[1,0,0]
	v_pk_fma_f16 v45, v82, s18, v45 op_sel:[0,0,1] op_sel_hi:[1,0,0] neg_lo:[1,0,0] neg_hi:[1,0,0]
	v_pk_add_f16 v46, v91, v46
	v_alignbit_b32 v86, s0, v85, 16
	v_pk_add_f16 v38, v45, v38
	v_pk_mul_f16 v45, v113, s12 op_sel_hi:[1,0]
	v_pk_add_f16 v46, v86, v46
	v_pk_add_f16 v42, v85, v42
	v_alignbit_b32 v85, s0, v84, 16
	v_pk_fma_f16 v82, v81, s16, v45 op_sel:[0,0,1] op_sel_hi:[1,0,0]
	v_pk_fma_f16 v45, v81, s16, v45 op_sel:[0,0,1] op_sel_hi:[1,0,0] neg_lo:[1,0,0] neg_hi:[1,0,0]
	v_bfi_b32 v34, s31, v36, v34
	v_pk_add_f16 v46, v85, v46
	v_pk_add_f16 v42, v84, v42
	v_alignbit_b32 v84, s0, v83, 16
	v_pk_add_f16 v38, v45, v38
	v_pk_mul_f16 v45, v110, s2 op_sel_hi:[1,0]
	v_pk_add_f16 v33, v33, v34
	v_bfi_b32 v34, s31, v44, v43
	v_pk_add_f16 v46, v84, v46
	v_pk_add_f16 v42, v83, v42
	v_alignbit_b32 v83, s0, v82, 16
	v_pk_fma_f16 v81, v79, s25, v45 op_sel:[0,0,1] op_sel_hi:[1,0,0]
	v_pk_add_f16 v33, v34, v33
	v_bfi_b32 v34, s31, v87, v116
	v_fma_f16 v127, v110, s12, -v127
	v_pk_add_f16 v46, v83, v46
	v_pk_add_f16 v42, v82, v42
	v_alignbit_b32 v82, s0, v81, 16
	v_pk_fma_f16 v45, v79, s25, v45 op_sel:[0,0,1] op_sel_hi:[1,0,0] neg_lo:[1,0,0] neg_hi:[1,0,0]
	v_pk_add_f16 v33, v34, v33
	v_bfi_b32 v34, s31, v89, v118
	v_add_f16_e32 v106, v127, v106
	v_fma_f16 v127, v79, s16, v128
	v_pk_add_f16 v46, v82, v46
	v_pk_add_f16 v38, v45, v38
	;; [unrolled: 1-line block ×4, first 2 shown]
	v_bfi_b32 v34, s31, v90, v120
	v_add_f16_e32 v109, v127, v109
	v_alignbit_b32 v42, v42, v38, 16
	v_pack_b32_f16 v38, v46, v38
	v_pk_add_f16 v33, v34, v33
	v_bfi_b32 v34, s31, v123, v122
	ds_write2_b32 v35, v38, v42 offset0:8 offset1:9
	v_pack_b32_f16 v38, v102, v105
	v_pack_b32_f16 v42, v106, v109
	v_pk_add_f16 v33, v34, v33
	v_bfi_b32 v34, s31, v125, v124
	ds_write2_b32 v35, v42, v38 offset0:10 offset1:11
	v_pack_b32_f16 v38, v94, v97
	;; [unrolled: 5-line block ×3, first 2 shown]
	v_pack_b32_f16 v42, v88, v93
	v_pk_add_f16 v79, v34, v33
	v_add_u32_e32 v33, 0x200, v47
	ds_write2_b32 v35, v42, v38 offset0:14 offset1:15
	ds_write_b32 v35, v79 offset:64
	s_waitcnt lgkmcnt(0)
	s_barrier
	ds_read2_b32 v[35:36], v47 offset1:85
	ds_read2_b32 v[33:34], v33 offset0:42 offset1:161
	ds_read2_b32 v[45:46], v37 offset0:66 offset1:151
	v_add_u32_e32 v37, 0xa00, v47
	ds_read2_b32 v[37:38], v37 offset0:108 offset1:227
	ds_read2_b32 v[43:44], v41 offset0:132 offset1:217
	;; [unrolled: 1-line block ×4, first 2 shown]
	ds_read_b32 v81, v47 offset:5304
	v_lshrrev_b32_e32 v80, 16, v79
	s_and_saveexec_b64 s[2:3], s[0:1]
	s_cbranch_execz .LBB0_7
; %bb.6:
	ds_read_b32 v77, v47 offset:1020
	ds_read_b32 v79, v47 offset:2176
	;; [unrolled: 1-line block ×5, first 2 shown]
	s_waitcnt lgkmcnt(4)
	v_lshrrev_b32_e32 v78, 16, v77
	s_waitcnt lgkmcnt(3)
	v_lshrrev_b32_e32 v80, 16, v79
	;; [unrolled: 2-line block ×5, first 2 shown]
.LBB0_7:
	s_or_b64 exec, exec, s[2:3]
	s_waitcnt lgkmcnt(6)
	v_lshrrev_b32_e32 v83, 16, v34
	v_mul_f16_sdwa v97, v4, v83 dst_sel:DWORD dst_unused:UNUSED_PAD src0_sel:WORD_1 src1_sel:DWORD
	s_waitcnt lgkmcnt(5)
	v_lshrrev_b32_e32 v84, 16, v45
	v_fma_f16 v97, v4, v34, v97
	v_mul_f16_sdwa v34, v4, v34 dst_sel:DWORD dst_unused:UNUSED_PAD src0_sel:WORD_1 src1_sel:DWORD
	v_fma_f16 v4, v4, v83, -v34
	v_mul_f16_sdwa v34, v5, v84 dst_sel:DWORD dst_unused:UNUSED_PAD src0_sel:WORD_1 src1_sel:DWORD
	s_waitcnt lgkmcnt(4)
	v_lshrrev_b32_e32 v85, 16, v38
	v_fma_f16 v34, v5, v45, v34
	v_mul_f16_sdwa v45, v5, v45 dst_sel:DWORD dst_unused:UNUSED_PAD src0_sel:WORD_1 src1_sel:DWORD
	v_fma_f16 v5, v5, v84, -v45
	;; [unrolled: 6-line block ×4, first 2 shown]
	v_mul_f16_sdwa v43, v8, v88 dst_sel:DWORD dst_unused:UNUSED_PAD src0_sel:WORD_1 src1_sel:DWORD
	v_lshrrev_b32_e32 v89, 16, v46
	v_fma_f16 v43, v8, v41, v43
	v_mul_f16_sdwa v41, v8, v41 dst_sel:DWORD dst_unused:UNUSED_PAD src0_sel:WORD_1 src1_sel:DWORD
	v_fma_f16 v8, v8, v88, -v41
	v_mul_f16_sdwa v41, v9, v89 dst_sel:DWORD dst_unused:UNUSED_PAD src0_sel:WORD_1 src1_sel:DWORD
	s_waitcnt lgkmcnt(1)
	v_lshrrev_b32_e32 v90, 16, v39
	v_fma_f16 v41, v9, v46, v41
	v_mul_f16_sdwa v46, v9, v46 dst_sel:DWORD dst_unused:UNUSED_PAD src0_sel:WORD_1 src1_sel:DWORD
	v_fma_f16 v9, v9, v89, -v46
	v_mul_f16_sdwa v46, v10, v90 dst_sel:DWORD dst_unused:UNUSED_PAD src0_sel:WORD_1 src1_sel:DWORD
	v_lshrrev_b32_e32 v91, 16, v44
	v_fma_f16 v46, v10, v39, v46
	v_mul_f16_sdwa v39, v10, v39 dst_sel:DWORD dst_unused:UNUSED_PAD src0_sel:WORD_1 src1_sel:DWORD
	v_fma_f16 v10, v10, v90, -v39
	v_mul_f16_sdwa v39, v11, v91 dst_sel:DWORD dst_unused:UNUSED_PAD src0_sel:WORD_1 src1_sel:DWORD
	;; [unrolled: 5-line block ×5, first 2 shown]
	v_add_f16_e32 v83, v34, v45
	s_waitcnt lgkmcnt(0)
	v_lshrrev_b32_e32 v96, 16, v81
	v_fma_f16 v37, v14, v40, v37
	v_mul_f16_sdwa v40, v14, v40 dst_sel:DWORD dst_unused:UNUSED_PAD src0_sel:WORD_1 src1_sel:DWORD
	v_fma_f16 v83, v83, -0.5, v35
	v_sub_f16_e32 v84, v4, v7
	s_mov_b32 s4, 0xbb9c
	s_movk_i32 s13, 0x3b9c
	v_fma_f16 v14, v14, v95, -v40
	v_mul_f16_sdwa v40, v15, v96 dst_sel:DWORD dst_unused:UNUSED_PAD src0_sel:WORD_1 src1_sel:DWORD
	v_fma_f16 v85, v84, s4, v83
	v_sub_f16_e32 v86, v5, v6
	s_mov_b32 s5, 0xb8b4
	v_sub_f16_e32 v88, v97, v34
	v_sub_f16_e32 v89, v38, v45
	v_fma_f16 v83, v84, s13, v83
	s_movk_i32 s14, 0x38b4
	v_fma_f16 v40, v15, v81, v40
	v_mul_f16_sdwa v81, v15, v81 dst_sel:DWORD dst_unused:UNUSED_PAD src0_sel:WORD_1 src1_sel:DWORD
	v_fma_f16 v85, v86, s5, v85
	v_add_f16_e32 v88, v88, v89
	s_movk_i32 s12, 0x34f2
	v_fma_f16 v83, v86, s14, v83
	v_fma_f16 v15, v15, v96, -v81
	v_add_f16_e32 v81, v35, v97
	v_fma_f16 v85, v88, s12, v85
	v_fma_f16 v83, v88, s12, v83
	v_add_f16_e32 v88, v97, v38
	v_lshrrev_b32_e32 v82, 16, v35
	v_add_f16_e32 v81, v81, v34
	v_fma_f16 v35, v88, -0.5, v35
	v_add_f16_e32 v81, v81, v45
	v_fma_f16 v88, v86, s13, v35
	v_sub_f16_e32 v89, v34, v97
	v_sub_f16_e32 v90, v45, v38
	v_fma_f16 v35, v86, s4, v35
	v_add_f16_e32 v86, v5, v6
	v_add_f16_e32 v81, v81, v38
	v_fma_f16 v88, v84, s5, v88
	v_add_f16_e32 v89, v89, v90
	v_fma_f16 v35, v84, s14, v35
	v_fma_f16 v86, v86, -0.5, v82
	v_sub_f16_e32 v38, v97, v38
	v_fma_f16 v88, v89, s12, v88
	v_fma_f16 v35, v89, s12, v35
	;; [unrolled: 1-line block ×3, first 2 shown]
	v_sub_f16_e32 v34, v34, v45
	v_fma_f16 v45, v34, s14, v89
	v_sub_f16_e32 v89, v4, v5
	v_sub_f16_e32 v90, v7, v6
	v_fma_f16 v86, v38, s4, v86
	v_add_f16_e32 v84, v82, v4
	v_add_f16_e32 v89, v89, v90
	v_fma_f16 v86, v34, s5, v86
	v_add_f16_e32 v84, v84, v5
	v_fma_f16 v45, v89, s12, v45
	v_fma_f16 v86, v89, s12, v86
	v_add_f16_e32 v89, v4, v7
	v_add_f16_e32 v84, v84, v6
	v_fma_f16 v82, v89, -0.5, v82
	v_add_f16_e32 v84, v84, v7
	v_fma_f16 v89, v34, s4, v82
	v_sub_f16_e32 v4, v5, v4
	v_sub_f16_e32 v5, v6, v7
	v_add_f16_e32 v7, v41, v46
	v_fma_f16 v89, v38, s14, v89
	v_add_f16_e32 v4, v4, v5
	v_fma_f16 v6, v34, s13, v82
	v_fma_f16 v7, v7, -0.5, v36
	v_sub_f16_e32 v34, v8, v11
	v_fma_f16 v5, v4, s12, v89
	v_fma_f16 v6, v38, s5, v6
	;; [unrolled: 1-line block ×3, first 2 shown]
	v_sub_f16_e32 v82, v9, v10
	v_sub_f16_e32 v89, v43, v41
	v_sub_f16_e32 v90, v39, v46
	v_fma_f16 v7, v34, s13, v7
	v_fma_f16 v38, v82, s5, v38
	v_add_f16_e32 v89, v89, v90
	v_fma_f16 v7, v82, s14, v7
	v_fma_f16 v4, v4, s12, v6
	v_add_f16_e32 v6, v36, v43
	;; [unrolled: 3-line block ×3, first 2 shown]
	v_lshrrev_b32_e32 v87, 16, v36
	v_add_f16_e32 v6, v6, v41
	v_fma_f16 v36, v89, -0.5, v36
	v_add_f16_e32 v6, v6, v46
	v_fma_f16 v89, v82, s13, v36
	v_sub_f16_e32 v90, v41, v43
	v_sub_f16_e32 v91, v46, v39
	v_fma_f16 v36, v82, s4, v36
	v_add_f16_e32 v82, v9, v10
	v_add_f16_e32 v6, v6, v39
	v_fma_f16 v89, v34, s5, v89
	v_add_f16_e32 v90, v90, v91
	v_fma_f16 v34, v34, s14, v36
	v_fma_f16 v82, v82, -0.5, v87
	v_sub_f16_e32 v39, v43, v39
	v_fma_f16 v89, v90, s12, v89
	v_fma_f16 v34, v90, s12, v34
	;; [unrolled: 1-line block ×3, first 2 shown]
	v_sub_f16_e32 v41, v41, v46
	v_sub_f16_e32 v46, v8, v9
	;; [unrolled: 1-line block ×3, first 2 shown]
	v_fma_f16 v82, v39, s4, v82
	v_add_f16_e32 v36, v87, v8
	v_fma_f16 v43, v41, s14, v43
	v_add_f16_e32 v46, v46, v90
	;; [unrolled: 2-line block ×3, first 2 shown]
	v_fma_f16 v43, v46, s12, v43
	v_fma_f16 v46, v46, s12, v82
	v_add_f16_e32 v82, v8, v11
	v_add_f16_e32 v36, v36, v10
	v_fma_f16 v82, v82, -0.5, v87
	v_add_f16_e32 v36, v36, v11
	v_fma_f16 v87, v41, s4, v82
	v_sub_f16_e32 v8, v9, v8
	v_sub_f16_e32 v9, v10, v11
	v_fma_f16 v10, v41, s13, v82
	v_add_f16_e32 v11, v42, v37
	v_fma_f16 v87, v39, s14, v87
	v_add_f16_e32 v8, v8, v9
	v_fma_f16 v10, v39, s5, v10
	v_fma_f16 v11, v11, -0.5, v33
	v_sub_f16_e32 v39, v12, v15
	v_fma_f16 v9, v8, s12, v87
	v_fma_f16 v41, v39, s4, v11
	v_sub_f16_e32 v82, v13, v14
	v_sub_f16_e32 v87, v44, v42
	;; [unrolled: 1-line block ×3, first 2 shown]
	v_fma_f16 v11, v39, s13, v11
	v_fma_f16 v41, v82, s5, v41
	v_add_f16_e32 v87, v87, v90
	v_fma_f16 v11, v82, s14, v11
	v_fma_f16 v8, v8, s12, v10
	v_add_f16_e32 v10, v33, v44
	;; [unrolled: 3-line block ×3, first 2 shown]
	v_lshrrev_b32_e32 v92, 16, v33
	v_add_f16_e32 v10, v10, v42
	v_fma_f16 v33, v87, -0.5, v33
	v_add_f16_e32 v10, v10, v37
	v_fma_f16 v87, v82, s13, v33
	v_fma_f16 v33, v82, s4, v33
	v_add_f16_e32 v82, v13, v14
	v_add_f16_e32 v10, v10, v40
	v_sub_f16_e32 v90, v42, v44
	v_sub_f16_e32 v91, v37, v40
	v_fma_f16 v82, v82, -0.5, v92
	v_sub_f16_e32 v40, v44, v40
	v_fma_f16 v87, v39, s5, v87
	v_add_f16_e32 v90, v90, v91
	v_fma_f16 v33, v39, s14, v33
	v_fma_f16 v44, v40, s13, v82
	v_sub_f16_e32 v37, v42, v37
	v_fma_f16 v87, v90, s12, v87
	v_fma_f16 v33, v90, s12, v33
	;; [unrolled: 1-line block ×3, first 2 shown]
	v_sub_f16_e32 v44, v12, v13
	v_sub_f16_e32 v90, v15, v14
	v_fma_f16 v82, v40, s4, v82
	v_add_f16_e32 v44, v44, v90
	v_fma_f16 v82, v37, s5, v82
	v_add_f16_e32 v39, v92, v12
	v_fma_f16 v42, v44, s12, v42
	v_fma_f16 v44, v44, s12, v82
	v_add_f16_e32 v82, v12, v15
	v_add_f16_e32 v39, v39, v13
	v_fma_f16 v82, v82, -0.5, v92
	v_add_f16_e32 v39, v39, v14
	v_fma_f16 v90, v37, s4, v82
	v_sub_f16_e32 v12, v13, v12
	v_sub_f16_e32 v13, v14, v15
	v_fma_f16 v14, v37, s13, v82
	v_pack_b32_f16 v5, v88, v5
	v_pack_b32_f16 v4, v35, v4
	v_fma_f16 v90, v40, s14, v90
	v_add_f16_e32 v12, v12, v13
	v_fma_f16 v14, v40, s5, v14
	s_barrier
	ds_write2_b32 v74, v5, v4 offset0:34 offset1:51
	v_pack_b32_f16 v4, v83, v86
	v_add_f16_e32 v39, v39, v15
	v_fma_f16 v13, v12, s12, v90
	v_fma_f16 v12, v12, s12, v14
	v_pack_b32_f16 v14, v81, v84
	v_pack_b32_f16 v15, v85, v45
	ds_write_b32 v74, v4 offset:272
	v_pack_b32_f16 v4, v6, v36
	v_pack_b32_f16 v5, v38, v43
	ds_write2_b32 v74, v14, v15 offset1:17
	ds_write2_b32 v75, v4, v5 offset1:17
	v_pack_b32_f16 v4, v89, v9
	v_pack_b32_f16 v5, v34, v8
	ds_write2_b32 v75, v4, v5 offset0:34 offset1:51
	v_pack_b32_f16 v4, v7, v46
	ds_write_b32 v75, v4 offset:272
	v_pack_b32_f16 v4, v10, v39
	v_pack_b32_f16 v5, v41, v42
	ds_write2_b32 v76, v4, v5 offset1:17
	v_pack_b32_f16 v4, v87, v13
	v_pack_b32_f16 v5, v33, v12
	ds_write2_b32 v76, v4, v5 offset0:34 offset1:51
	v_pack_b32_f16 v4, v11, v44
	ds_write_b32 v76, v4 offset:272
	s_and_saveexec_b64 s[2:3], s[0:1]
	s_cbranch_execz .LBB0_9
; %bb.8:
	v_mul_f16_sdwa v4, v1, v69 dst_sel:DWORD dst_unused:UNUSED_PAD src0_sel:WORD_1 src1_sel:DWORD
	v_mul_f16_sdwa v5, v0, v79 dst_sel:DWORD dst_unused:UNUSED_PAD src0_sel:WORD_1 src1_sel:DWORD
	v_mul_f16_sdwa v7, v2, v70 dst_sel:DWORD dst_unused:UNUSED_PAD src0_sel:WORD_1 src1_sel:DWORD
	v_mul_f16_sdwa v8, v3, v68 dst_sel:DWORD dst_unused:UNUSED_PAD src0_sel:WORD_1 src1_sel:DWORD
	v_fma_f16 v4, v1, v72, -v4
	v_fma_f16 v5, v0, v80, -v5
	;; [unrolled: 1-line block ×4, first 2 shown]
	v_sub_f16_e32 v6, v4, v5
	v_sub_f16_e32 v9, v7, v8
	v_add_f16_e32 v6, v6, v9
	v_mul_f16_sdwa v9, v1, v72 dst_sel:DWORD dst_unused:UNUSED_PAD src0_sel:WORD_1 src1_sel:DWORD
	v_fma_f16 v1, v1, v69, v9
	v_mul_f16_sdwa v9, v2, v73 dst_sel:DWORD dst_unused:UNUSED_PAD src0_sel:WORD_1 src1_sel:DWORD
	v_mul_f16_sdwa v12, v0, v80 dst_sel:DWORD dst_unused:UNUSED_PAD src0_sel:WORD_1 src1_sel:DWORD
	v_fma_f16 v2, v2, v70, v9
	v_add_f16_e32 v10, v5, v8
	v_fma_f16 v0, v0, v79, v12
	v_mul_f16_sdwa v12, v3, v71 dst_sel:DWORD dst_unused:UNUSED_PAD src0_sel:WORD_1 src1_sel:DWORD
	v_sub_f16_e32 v9, v1, v2
	v_fma_f16 v10, v10, -0.5, v78
	v_fma_f16 v3, v3, v68, v12
	v_fma_f16 v11, v9, s13, v10
	v_sub_f16_e32 v12, v0, v3
	v_fma_f16 v10, v9, s4, v10
	v_fma_f16 v11, v12, s5, v11
	v_fma_f16 v10, v12, s14, v10
	v_fma_f16 v11, v6, s12, v11
	v_fma_f16 v6, v6, s12, v10
	v_sub_f16_e32 v10, v5, v4
	v_sub_f16_e32 v13, v8, v7
	v_add_f16_e32 v10, v10, v13
	v_add_f16_e32 v13, v4, v7
	v_fma_f16 v13, v13, -0.5, v78
	v_fma_f16 v14, v12, s4, v13
	v_fma_f16 v12, v12, s13, v13
	;; [unrolled: 1-line block ×6, first 2 shown]
	v_add_f16_e32 v10, v78, v5
	v_add_f16_e32 v10, v10, v4
	;; [unrolled: 1-line block ×4, first 2 shown]
	v_sub_f16_e32 v5, v5, v8
	v_add_f16_e32 v8, v0, v3
	v_fma_f16 v8, v8, -0.5, v77
	v_sub_f16_e32 v4, v4, v7
	v_sub_f16_e32 v12, v1, v0
	;; [unrolled: 1-line block ×3, first 2 shown]
	v_fma_f16 v7, v4, s4, v8
	v_fma_f16 v8, v4, s13, v8
	v_add_f16_e32 v12, v12, v13
	v_fma_f16 v7, v5, s14, v7
	v_fma_f16 v8, v5, s5, v8
	;; [unrolled: 1-line block ×4, first 2 shown]
	v_sub_f16_e32 v12, v0, v1
	v_sub_f16_e32 v13, v3, v2
	v_add_f16_e32 v12, v12, v13
	v_add_f16_e32 v13, v1, v2
	v_fma_f16 v13, v13, -0.5, v77
	v_add_f16_e32 v0, v77, v0
	v_fma_f16 v15, v5, s13, v13
	v_fma_f16 v5, v5, s4, v13
	v_add_f16_e32 v0, v0, v1
	v_fma_f16 v15, v4, s14, v15
	v_fma_f16 v4, v4, s5, v5
	v_add_f16_e32 v0, v0, v2
	s_movk_i32 s0, 0x55
	v_fma_f16 v4, v12, s12, v4
	v_add_f16_e32 v0, v0, v3
	v_mad_legacy_u16 v1, v66, s0, v67
	v_lshlrev_b32_e32 v1, 2, v1
	v_pack_b32_f16 v0, v0, v10
	v_pack_b32_f16 v2, v4, v9
	v_fma_f16 v15, v12, s12, v15
	ds_write2_b32 v1, v0, v2 offset1:17
	v_pack_b32_f16 v0, v8, v6
	v_pack_b32_f16 v2, v7, v11
	ds_write2_b32 v1, v0, v2 offset0:34 offset1:51
	v_pack_b32_f16 v0, v15, v14
	ds_write_b32 v1, v0 offset:272
.LBB0_9:
	s_or_b64 exec, exec, s[2:3]
	s_waitcnt lgkmcnt(0)
	s_barrier
	ds_read2_b32 v[33:34], v47 offset1:85
	ds_read2_b32 v[7:8], v47 offset0:170 offset1:255
	v_add_u32_e32 v6, 0x400, v47
	ds_read2_b32 v[9:10], v6 offset0:84 offset1:169
	v_add_u32_e32 v5, 0x600, v47
	s_waitcnt lgkmcnt(2)
	v_lshrrev_b32_e32 v3, 16, v34
	v_mul_f16_sdwa v75, v16, v3 dst_sel:DWORD dst_unused:UNUSED_PAD src0_sel:WORD_1 src1_sel:DWORD
	s_waitcnt lgkmcnt(1)
	v_lshrrev_b32_e32 v11, 16, v7
	v_fma_f16 v75, v16, v34, v75
	v_mul_f16_sdwa v34, v16, v34 dst_sel:DWORD dst_unused:UNUSED_PAD src0_sel:WORD_1 src1_sel:DWORD
	v_fma_f16 v34, v16, v3, -v34
	v_mul_f16_sdwa v3, v17, v11 dst_sel:DWORD dst_unused:UNUSED_PAD src0_sel:WORD_1 src1_sel:DWORD
	v_lshrrev_b32_e32 v41, 16, v8
	v_fma_f16 v76, v17, v7, v3
	v_mul_f16_sdwa v3, v17, v7 dst_sel:DWORD dst_unused:UNUSED_PAD src0_sel:WORD_1 src1_sel:DWORD
	ds_read2_b32 v[12:13], v5 offset0:126 offset1:211
	v_fma_f16 v77, v17, v11, -v3
	v_mul_f16_sdwa v3, v18, v41 dst_sel:DWORD dst_unused:UNUSED_PAD src0_sel:WORD_1 src1_sel:DWORD
	s_waitcnt lgkmcnt(1)
	v_lshrrev_b32_e32 v42, 16, v9
	v_fma_f16 v78, v18, v8, v3
	v_mul_f16_sdwa v3, v18, v8 dst_sel:DWORD dst_unused:UNUSED_PAD src0_sel:WORD_1 src1_sel:DWORD
	v_fma_f16 v18, v18, v41, -v3
	v_mul_f16_sdwa v3, v19, v42 dst_sel:DWORD dst_unused:UNUSED_PAD src0_sel:WORD_1 src1_sel:DWORD
	v_lshrrev_b32_e32 v43, 16, v10
	v_add_u32_e32 v4, 0x800, v47
	v_fma_f16 v41, v19, v9, v3
	v_mul_f16_sdwa v3, v19, v9 dst_sel:DWORD dst_unused:UNUSED_PAD src0_sel:WORD_1 src1_sel:DWORD
	ds_read2_b32 v[14:15], v4 offset0:168 offset1:253
	v_fma_f16 v19, v19, v42, -v3
	v_mul_f16_sdwa v3, v20, v43 dst_sel:DWORD dst_unused:UNUSED_PAD src0_sel:WORD_1 src1_sel:DWORD
	s_waitcnt lgkmcnt(1)
	v_lshrrev_b32_e32 v44, 16, v12
	v_fma_f16 v42, v20, v10, v3
	v_mul_f16_sdwa v3, v20, v10 dst_sel:DWORD dst_unused:UNUSED_PAD src0_sel:WORD_1 src1_sel:DWORD
	v_fma_f16 v20, v20, v43, -v3
	v_mul_f16_sdwa v3, v21, v44 dst_sel:DWORD dst_unused:UNUSED_PAD src0_sel:WORD_1 src1_sel:DWORD
	v_add_u32_e32 v2, 0xc00, v47
	v_lshrrev_b32_e32 v45, 16, v13
	v_fma_f16 v16, v21, v12, v3
	v_mul_f16_sdwa v3, v21, v12 dst_sel:DWORD dst_unused:UNUSED_PAD src0_sel:WORD_1 src1_sel:DWORD
	ds_read2_b32 v[35:36], v2 offset0:82 offset1:167
	v_fma_f16 v17, v21, v44, -v3
	v_mul_f16_sdwa v3, v22, v45 dst_sel:DWORD dst_unused:UNUSED_PAD src0_sel:WORD_1 src1_sel:DWORD
	s_waitcnt lgkmcnt(1)
	v_lshrrev_b32_e32 v46, 16, v14
	v_fma_f16 v12, v22, v13, v3
	v_mul_f16_sdwa v3, v22, v13 dst_sel:DWORD dst_unused:UNUSED_PAD src0_sel:WORD_1 src1_sel:DWORD
	v_fma_f16 v13, v22, v45, -v3
	v_mul_f16_sdwa v3, v23, v46 dst_sel:DWORD dst_unused:UNUSED_PAD src0_sel:WORD_1 src1_sel:DWORD
	v_lshrrev_b32_e32 v66, 16, v15
	v_add_u32_e32 v1, 0xe00, v47
	v_fma_f16 v8, v23, v14, v3
	v_mul_f16_sdwa v3, v23, v14 dst_sel:DWORD dst_unused:UNUSED_PAD src0_sel:WORD_1 src1_sel:DWORD
	ds_read2_b32 v[37:38], v1 offset0:124 offset1:209
	v_fma_f16 v9, v23, v46, -v3
	v_mul_f16_sdwa v3, v24, v66 dst_sel:DWORD dst_unused:UNUSED_PAD src0_sel:WORD_1 src1_sel:DWORD
	s_waitcnt lgkmcnt(1)
	v_lshrrev_b32_e32 v67, 16, v35
	v_fma_f16 v10, v24, v15, v3
	v_mul_f16_sdwa v3, v24, v15 dst_sel:DWORD dst_unused:UNUSED_PAD src0_sel:WORD_1 src1_sel:DWORD
	v_fma_f16 v11, v24, v66, -v3
	v_mul_f16_sdwa v3, v25, v67 dst_sel:DWORD dst_unused:UNUSED_PAD src0_sel:WORD_1 src1_sel:DWORD
	v_add_u32_e32 v0, 0x1000, v47
	v_lshrrev_b32_e32 v68, 16, v36
	v_fma_f16 v14, v25, v35, v3
	v_mul_f16_sdwa v3, v25, v35 dst_sel:DWORD dst_unused:UNUSED_PAD src0_sel:WORD_1 src1_sel:DWORD
	ds_read2_b32 v[39:40], v0 offset0:166 offset1:251
	v_fma_f16 v15, v25, v67, -v3
	v_mul_f16_sdwa v3, v26, v68 dst_sel:DWORD dst_unused:UNUSED_PAD src0_sel:WORD_1 src1_sel:DWORD
	s_waitcnt lgkmcnt(1)
	v_lshrrev_b32_e32 v70, 16, v37
	v_fma_f16 v21, v26, v36, v3
	v_mul_f16_sdwa v3, v26, v36 dst_sel:DWORD dst_unused:UNUSED_PAD src0_sel:WORD_1 src1_sel:DWORD
	v_fma_f16 v22, v26, v68, -v3
	v_mul_f16_sdwa v3, v27, v70 dst_sel:DWORD dst_unused:UNUSED_PAD src0_sel:WORD_1 src1_sel:DWORD
	v_lshrrev_b32_e32 v71, 16, v38
	v_fma_f16 v23, v27, v37, v3
	v_mul_f16_sdwa v3, v27, v37 dst_sel:DWORD dst_unused:UNUSED_PAD src0_sel:WORD_1 src1_sel:DWORD
	ds_read_b32 v69, v47 offset:5440
	v_fma_f16 v24, v27, v70, -v3
	v_mul_f16_sdwa v3, v28, v71 dst_sel:DWORD dst_unused:UNUSED_PAD src0_sel:WORD_1 src1_sel:DWORD
	s_waitcnt lgkmcnt(1)
	v_lshrrev_b32_e32 v72, 16, v39
	v_fma_f16 v25, v28, v38, v3
	v_mul_f16_sdwa v3, v28, v38 dst_sel:DWORD dst_unused:UNUSED_PAD src0_sel:WORD_1 src1_sel:DWORD
	v_fma_f16 v26, v28, v71, -v3
	v_mul_f16_sdwa v3, v29, v72 dst_sel:DWORD dst_unused:UNUSED_PAD src0_sel:WORD_1 src1_sel:DWORD
	v_lshrrev_b32_e32 v73, 16, v40
	v_fma_f16 v27, v29, v39, v3
	v_mul_f16_sdwa v3, v29, v39 dst_sel:DWORD dst_unused:UNUSED_PAD src0_sel:WORD_1 src1_sel:DWORD
	v_fma_f16 v28, v29, v72, -v3
	v_mul_f16_sdwa v3, v30, v73 dst_sel:DWORD dst_unused:UNUSED_PAD src0_sel:WORD_1 src1_sel:DWORD
	s_waitcnt lgkmcnt(0)
	v_lshrrev_b32_e32 v74, 16, v69
	v_fma_f16 v29, v30, v40, v3
	v_mul_f16_sdwa v3, v30, v40 dst_sel:DWORD dst_unused:UNUSED_PAD src0_sel:WORD_1 src1_sel:DWORD
	v_fma_f16 v30, v30, v73, -v3
	v_mul_f16_sdwa v3, v31, v74 dst_sel:DWORD dst_unused:UNUSED_PAD src0_sel:WORD_1 src1_sel:DWORD
	v_fma_f16 v35, v31, v69, v3
	v_mul_f16_sdwa v3, v31, v69 dst_sel:DWORD dst_unused:UNUSED_PAD src0_sel:WORD_1 src1_sel:DWORD
	v_add_f16_sdwa v7, v33, v34 dst_sel:DWORD dst_unused:UNUSED_PAD src0_sel:WORD_1 src1_sel:DWORD
	v_fma_f16 v31, v31, v74, -v3
	v_add_f16_e32 v3, v33, v75
	v_add_f16_e32 v7, v7, v77
	;; [unrolled: 1-line block ×31, first 2 shown]
	v_sub_f16_e32 v31, v34, v31
	v_add_f16_e32 v3, v3, v35
	v_add_f16_e32 v36, v75, v35
	v_sub_f16_e32 v35, v75, v35
	s_mov_b32 s16, 0xb5c8
	v_mul_f16_e32 v34, 0xb5c8, v31
	s_movk_i32 s17, 0x3b76
	v_mul_f16_e32 v39, 0x3b76, v37
	s_movk_i32 s18, 0x35c8
	s_mov_b32 s12, 0xb964
	v_mul_f16_e32 v43, 0xb964, v31
	s_movk_i32 s13, 0x39e9
	v_mul_f16_e32 v45, 0x39e9, v37
	s_movk_i32 s14, 0x3964
	;; [unrolled: 5-line block ×4, first 2 shown]
	s_mov_b32 s15, 0xbbb2
	v_mul_f16_e32 v74, 0xbbb2, v31
	s_mov_b32 s19, 0xb461
	v_mul_f16_e32 v79, 0xb461, v37
	s_movk_i32 s20, 0x3bb2
	s_mov_b32 s21, 0xba62
	v_mul_f16_e32 v81, 0xba62, v31
	s_mov_b32 s22, 0xb8d2
	v_mul_f16_e32 v83, 0xb8d2, v37
	s_movk_i32 s23, 0x3a62
	;; [unrolled: 5-line block ×4, first 2 shown]
	v_fma_f16 v38, v36, s17, v34
	v_fma_f16 v40, v35, s18, v39
	v_fma_f16 v34, v36, s17, -v34
	v_fma_f16 v39, v35, s16, v39
	v_fma_f16 v44, v36, s13, v43
	v_fma_f16 v46, v35, s14, v45
	v_fma_f16 v43, v36, s13, -v43
	v_fma_f16 v45, v35, s12, v45
	;; [unrolled: 4-line block ×8, first 2 shown]
	v_add_f16_e32 v36, v77, v30
	v_sub_f16_e32 v30, v77, v30
	v_add_f16_e32 v38, v33, v38
	v_add_f16_sdwa v40, v33, v40 dst_sel:DWORD dst_unused:UNUSED_PAD src0_sel:WORD_1 src1_sel:DWORD
	v_add_f16_e32 v34, v33, v34
	v_add_f16_sdwa v39, v33, v39 dst_sel:DWORD dst_unused:UNUSED_PAD src0_sel:WORD_1 src1_sel:DWORD
	;; [unrolled: 2-line block ×16, first 2 shown]
	v_add_f16_e32 v35, v76, v29
	v_mul_f16_e32 v37, 0xb964, v30
	v_sub_f16_e32 v29, v76, v29
	v_fma_f16 v76, v35, s13, v37
	v_add_f16_e32 v38, v76, v38
	v_mul_f16_e32 v76, 0x39e9, v36
	v_fma_f16 v37, v35, s13, -v37
	v_add_f16_e32 v34, v37, v34
	v_fma_f16 v37, v29, s12, v76
	v_add_f16_e32 v37, v37, v39
	v_mul_f16_e32 v39, 0xbbf7, v30
	v_fma_f16 v77, v29, s14, v76
	v_fma_f16 v76, v35, s1, v39
	v_add_f16_e32 v44, v76, v44
	v_mul_f16_e32 v76, 0x2de8, v36
	v_fma_f16 v39, v35, s1, -v39
	v_add_f16_e32 v39, v39, v43
	v_fma_f16 v43, v29, s0, v76
	v_add_f16_e32 v43, v43, v45
	v_mul_f16_e32 v45, 0xba62, v30
	v_add_f16_e32 v40, v77, v40
	v_fma_f16 v77, v29, s2, v76
	v_fma_f16 v76, v35, s22, v45
	v_add_f16_e32 v67, v76, v67
	v_mul_f16_e32 v76, 0xb8d2, v36
	v_fma_f16 v45, v35, s22, -v45
	v_add_f16_e32 v45, v45, v66
	v_fma_f16 v66, v29, s21, v76
	v_add_f16_e32 v66, v66, v68
	v_mul_f16_e32 v68, 0xb1e1, v30
	v_add_f16_e32 v46, v77, v46
	;; [unrolled: 10-line block ×3, first 2 shown]
	v_fma_f16 v77, v29, s29, v76
	v_fma_f16 v76, v35, s25, v72
	v_add_f16_e32 v75, v76, v75
	v_mul_f16_e32 v76, 0xbacd, v36
	v_fma_f16 v72, v35, s25, -v72
	v_add_f16_e32 v73, v77, v73
	v_fma_f16 v77, v29, s24, v76
	v_add_f16_e32 v72, v72, v74
	v_fma_f16 v74, v29, s26, v76
	v_mul_f16_e32 v76, 0x3bb2, v30
	v_add_f16_e32 v77, v77, v80
	v_add_f16_e32 v74, v74, v79
	v_fma_f16 v79, v35, s19, v76
	v_mul_f16_e32 v80, 0xb461, v36
	v_fma_f16 v76, v35, s19, -v76
	v_add_f16_e32 v79, v79, v82
	v_fma_f16 v82, v29, s15, v80
	v_add_f16_e32 v76, v76, v81
	v_fma_f16 v80, v29, s20, v80
	v_mul_f16_e32 v81, 0x3b29, v30
	v_add_f16_e32 v82, v82, v84
	v_add_f16_e32 v80, v80, v83
	v_fma_f16 v83, v35, s4, v81
	v_mul_f16_e32 v84, 0x3722, v36
	v_add_f16_e32 v83, v83, v86
	v_fma_f16 v86, v29, s3, v84
	v_fma_f16 v84, v29, s5, v84
	v_mul_f16_e32 v36, 0x3b76, v36
	v_fma_f16 v81, v35, s4, -v81
	v_add_f16_e32 v84, v84, v87
	v_mul_f16_e32 v30, 0x35c8, v30
	v_fma_f16 v87, v29, s16, v36
	v_fma_f16 v29, v29, s18, v36
	v_add_f16_e32 v81, v81, v85
	v_fma_f16 v85, v35, s17, v30
	v_fma_f16 v30, v35, s17, -v30
	v_add_f16_e32 v29, v29, v33
	v_add_f16_e32 v33, v18, v28
	v_sub_f16_e32 v18, v18, v28
	v_add_f16_e32 v30, v30, v31
	v_add_f16_e32 v31, v78, v27
	v_mul_f16_e32 v28, 0xbb29, v18
	v_sub_f16_e32 v27, v78, v27
	v_fma_f16 v35, v31, s4, v28
	v_mul_f16_e32 v36, 0x3722, v33
	v_fma_f16 v28, v31, s4, -v28
	v_add_f16_e32 v35, v35, v38
	v_fma_f16 v38, v27, s5, v36
	v_add_f16_e32 v28, v28, v34
	v_fma_f16 v34, v27, s3, v36
	v_mul_f16_e32 v36, 0xba62, v18
	v_add_f16_e32 v38, v38, v40
	v_add_f16_e32 v34, v34, v37
	v_fma_f16 v37, v31, s22, v36
	v_mul_f16_e32 v40, 0xb8d2, v33
	v_fma_f16 v36, v31, s22, -v36
	v_add_f16_e32 v37, v37, v44
	v_fma_f16 v44, v27, s23, v40
	v_add_f16_e32 v36, v36, v39
	v_fma_f16 v39, v27, s21, v40
	v_mul_f16_e32 v40, 0x31e1, v18
	v_add_f16_e32 v44, v44, v46
	v_add_f16_e32 v39, v39, v43
	;; [unrolled: 10-line block ×5, first 2 shown]
	v_fma_f16 v74, v31, s17, v73
	v_mul_f16_e32 v77, 0x3b76, v33
	v_fma_f16 v73, v31, s17, -v73
	v_fma_f16 v78, v27, s18, v77
	v_add_f16_e32 v73, v73, v76
	v_fma_f16 v76, v27, s16, v77
	v_mul_f16_e32 v77, 0xbbf7, v18
	v_add_f16_e32 v74, v74, v79
	v_fma_f16 v79, v31, s1, v77
	v_fma_f16 v77, v31, s1, -v77
	v_mul_f16_e32 v18, 0xb836, v18
	v_add_f16_e32 v76, v76, v80
	v_mul_f16_e32 v80, 0x2de8, v33
	v_add_f16_e32 v77, v77, v81
	v_fma_f16 v81, v31, s25, v18
	v_mul_f16_e32 v33, 0xbacd, v33
	v_fma_f16 v18, v31, s25, -v18
	v_add_f16_e32 v78, v78, v82
	v_add_f16_e32 v79, v79, v83
	v_fma_f16 v82, v27, s2, v80
	v_fma_f16 v80, v27, s0, v80
	v_fma_f16 v83, v27, s26, v33
	v_add_f16_e32 v18, v18, v30
	v_fma_f16 v27, v27, s24, v33
	v_add_f16_e32 v30, v19, v26
	v_sub_f16_e32 v19, v19, v26
	v_add_f16_e32 v27, v27, v29
	v_add_f16_e32 v29, v41, v25
	v_mul_f16_e32 v26, 0xbbf7, v19
	v_sub_f16_e32 v25, v41, v25
	v_fma_f16 v31, v29, s1, v26
	v_mul_f16_e32 v33, 0x2de8, v30
	v_fma_f16 v26, v29, s1, -v26
	v_add_f16_e32 v31, v31, v35
	v_fma_f16 v35, v25, s2, v33
	v_add_f16_e32 v26, v26, v28
	v_fma_f16 v28, v25, s0, v33
	v_mul_f16_e32 v33, 0xb1e1, v19
	v_add_f16_e32 v28, v28, v34
	v_fma_f16 v34, v29, s28, v33
	v_add_f16_e32 v34, v34, v37
	v_mul_f16_e32 v37, 0xbbdd, v30
	v_fma_f16 v33, v29, s28, -v33
	v_add_f16_e32 v35, v35, v38
	v_fma_f16 v38, v25, s29, v37
	v_add_f16_e32 v33, v33, v36
	v_fma_f16 v36, v25, s27, v37
	v_mul_f16_e32 v37, 0x3bb2, v19
	v_add_f16_e32 v36, v36, v39
	v_fma_f16 v39, v29, s19, v37
	v_mul_f16_e32 v41, 0xb461, v30
	v_fma_f16 v37, v29, s19, -v37
	v_add_f16_e32 v39, v39, v43
	v_fma_f16 v43, v25, s15, v41
	v_add_f16_e32 v37, v37, v40
	v_fma_f16 v40, v25, s20, v41
	v_mul_f16_e32 v41, 0x35c8, v19
	v_add_f16_e32 v38, v38, v44
	v_fma_f16 v44, v29, s17, v41
	v_fma_f16 v41, v29, s17, -v41
	v_add_f16_e32 v40, v40, v45
	v_mul_f16_e32 v45, 0x3b76, v30
	v_add_f16_e32 v41, v41, v46
	v_mul_f16_e32 v46, 0xbb29, v19
	v_add_f16_e32 v43, v43, v67
	v_add_f16_e32 v44, v44, v66
	v_fma_f16 v66, v25, s16, v45
	v_fma_f16 v45, v25, s18, v45
	v_fma_f16 v67, v29, s4, v46
	v_fma_f16 v46, v29, s4, -v46
	v_add_f16_e32 v45, v45, v68
	v_mul_f16_e32 v68, 0x3722, v30
	v_add_f16_e32 v46, v46, v69
	v_mul_f16_e32 v69, 0xb836, v19
	v_add_f16_e32 v66, v66, v71
	v_add_f16_e32 v67, v67, v70
	v_fma_f16 v70, v25, s5, v68
	v_fma_f16 v68, v25, s3, v68
	;; [unrolled: 10-line block ×3, first 2 shown]
	v_fma_f16 v75, v29, s22, v73
	v_fma_f16 v73, v29, s22, -v73
	v_mul_f16_e32 v19, 0x3964, v19
	v_add_f16_e32 v72, v72, v76
	v_mul_f16_e32 v76, 0xb8d2, v30
	v_add_f16_e32 v73, v73, v77
	v_fma_f16 v77, v29, s13, v19
	v_mul_f16_e32 v30, 0x39e9, v30
	v_fma_f16 v19, v29, s13, -v19
	v_add_f16_e32 v18, v19, v18
	v_fma_f16 v19, v25, s14, v30
	v_add_f16_e32 v19, v19, v27
	v_add_f16_e32 v27, v20, v24
	v_sub_f16_e32 v20, v20, v24
	v_add_f16_e32 v74, v74, v78
	v_add_f16_e32 v75, v75, v79
	v_fma_f16 v78, v25, s21, v76
	v_fma_f16 v76, v25, s23, v76
	;; [unrolled: 1-line block ×3, first 2 shown]
	v_add_f16_e32 v25, v42, v23
	v_mul_f16_e32 v24, 0xbbb2, v20
	v_sub_f16_e32 v23, v42, v23
	v_fma_f16 v29, v25, s19, v24
	v_mul_f16_e32 v30, 0xb461, v27
	v_fma_f16 v24, v25, s19, -v24
	v_add_f16_e32 v24, v24, v26
	v_fma_f16 v26, v23, s15, v30
	v_add_f16_e32 v26, v26, v28
	v_mul_f16_e32 v28, 0x3836, v20
	v_add_f16_e32 v29, v29, v31
	v_fma_f16 v31, v23, s20, v30
	v_fma_f16 v30, v25, s25, v28
	v_add_f16_e32 v30, v30, v34
	v_mul_f16_e32 v34, 0xbacd, v27
	v_fma_f16 v28, v25, s25, -v28
	v_add_f16_e32 v31, v31, v35
	v_fma_f16 v35, v23, s24, v34
	v_add_f16_e32 v28, v28, v33
	v_fma_f16 v33, v23, s26, v34
	v_mul_f16_e32 v34, 0x3964, v20
	v_add_f16_e32 v35, v35, v38
	v_add_f16_e32 v33, v33, v36
	v_fma_f16 v36, v25, s13, v34
	v_mul_f16_e32 v38, 0x39e9, v27
	v_fma_f16 v34, v25, s13, -v34
	v_add_f16_e32 v36, v36, v39
	v_fma_f16 v39, v23, s12, v38
	v_add_f16_e32 v34, v34, v37
	v_fma_f16 v37, v23, s14, v38
	v_mul_f16_e32 v38, 0xbb29, v20
	v_add_f16_e32 v37, v37, v40
	v_fma_f16 v40, v25, s4, v38
	v_mul_f16_e32 v42, 0x3722, v27
	v_fma_f16 v38, v25, s4, -v38
	v_add_f16_e32 v39, v39, v43
	v_fma_f16 v43, v23, s5, v42
	v_add_f16_e32 v38, v38, v41
	v_fma_f16 v41, v23, s3, v42
	v_mul_f16_e32 v42, 0xb1e1, v20
	v_add_f16_e32 v40, v40, v44
	v_fma_f16 v44, v25, s28, v42
	v_fma_f16 v42, v25, s28, -v42
	v_add_f16_e32 v41, v41, v45
	v_mul_f16_e32 v45, 0xbbdd, v27
	v_add_f16_e32 v42, v42, v46
	v_mul_f16_e32 v46, 0x3bf7, v20
	v_add_f16_e32 v43, v43, v66
	v_add_f16_e32 v44, v44, v67
	v_fma_f16 v66, v23, s29, v45
	v_fma_f16 v45, v23, s27, v45
	v_fma_f16 v67, v25, s1, v46
	v_fma_f16 v46, v25, s1, -v46
	v_add_f16_e32 v45, v45, v68
	v_mul_f16_e32 v68, 0x2de8, v27
	v_add_f16_e32 v46, v46, v69
	v_mul_f16_e32 v69, 0xb5c8, v20
	v_add_f16_e32 v66, v66, v70
	v_add_f16_e32 v67, v67, v71
	v_fma_f16 v70, v23, s0, v68
	v_fma_f16 v68, v23, s2, v68
	;; [unrolled: 1-line block ×3, first 2 shown]
	v_fma_f16 v69, v25, s17, -v69
	v_mul_f16_e32 v20, 0xba62, v20
	v_add_f16_e32 v68, v68, v72
	v_mul_f16_e32 v72, 0x3b76, v27
	v_add_f16_e32 v69, v69, v73
	v_fma_f16 v73, v25, s22, v20
	v_mul_f16_e32 v27, 0xb8d2, v27
	v_fma_f16 v20, v25, s22, -v20
	v_add_f16_e32 v70, v70, v74
	v_add_f16_e32 v71, v71, v75
	v_fma_f16 v74, v23, s18, v72
	v_fma_f16 v72, v23, s16, v72
	;; [unrolled: 1-line block ×3, first 2 shown]
	v_add_f16_e32 v18, v20, v18
	v_fma_f16 v20, v23, s21, v27
	v_add_f16_e32 v23, v17, v22
	v_sub_f16_e32 v17, v17, v22
	v_add_f16_e32 v19, v20, v19
	v_add_f16_e32 v20, v16, v21
	v_sub_f16_e32 v16, v16, v21
	v_mul_f16_e32 v21, 0xba62, v17
	v_fma_f16 v22, v20, s22, v21
	v_mul_f16_e32 v25, 0xb8d2, v23
	v_fma_f16 v21, v20, s22, -v21
	v_fma_f16 v27, v16, s23, v25
	v_add_f16_e32 v21, v21, v24
	v_fma_f16 v24, v16, s21, v25
	v_mul_f16_e32 v25, 0x3bb2, v17
	v_add_f16_e32 v22, v22, v29
	v_add_f16_e32 v24, v24, v26
	v_fma_f16 v26, v20, s19, v25
	v_mul_f16_e32 v29, 0xb461, v23
	v_fma_f16 v25, v20, s19, -v25
	v_add_f16_e32 v26, v26, v30
	v_fma_f16 v30, v16, s15, v29
	v_add_f16_e32 v25, v25, v28
	v_fma_f16 v28, v16, s20, v29
	v_mul_f16_e32 v29, 0xb5c8, v17
	v_add_f16_e32 v27, v27, v31
	v_add_f16_e32 v28, v28, v33
	v_fma_f16 v31, v20, s17, v29
	v_mul_f16_e32 v33, 0x3b76, v23
	v_fma_f16 v29, v20, s17, -v29
	v_add_f16_e32 v30, v30, v35
	;; [unrolled: 10-line block ×5, first 2 shown]
	v_fma_f16 v66, v16, s14, v45
	v_add_f16_e32 v42, v42, v46
	v_fma_f16 v45, v16, s12, v45
	v_mul_f16_e32 v46, 0xb1e1, v17
	v_add_f16_e32 v44, v44, v67
	v_add_f16_e32 v45, v45, v68
	v_fma_f16 v67, v20, s28, v46
	v_mul_f16_e32 v68, 0xbbdd, v23
	v_mul_f16_e32 v23, 0x3722, v23
	v_add_f16_e32 v66, v66, v70
	v_add_f16_e32 v67, v67, v71
	v_fma_f16 v70, v16, s29, v68
	v_fma_f16 v46, v20, s28, -v46
	v_fma_f16 v68, v16, s27, v68
	v_mul_f16_e32 v17, 0x3b29, v17
	v_fma_f16 v71, v16, s3, v23
	v_fma_f16 v16, v16, s5, v23
	v_add_f16_e32 v46, v46, v69
	v_fma_f16 v69, v20, s4, v17
	v_fma_f16 v17, v20, s4, -v17
	v_add_f16_e32 v16, v16, v19
	v_add_f16_e32 v19, v13, v15
	v_sub_f16_e32 v13, v13, v15
	v_add_f16_e32 v17, v17, v18
	v_add_f16_e32 v18, v12, v14
	v_sub_f16_e32 v12, v12, v14
	v_mul_f16_e32 v14, 0xb836, v13
	v_fma_f16 v15, v18, s25, v14
	v_fma_f16 v14, v18, s25, -v14
	v_mul_f16_e32 v20, 0xbacd, v19
	v_add_f16_e32 v14, v14, v21
	v_mul_f16_e32 v21, 0x3b29, v13
	v_add_f16_e32 v15, v15, v22
	v_fma_f16 v22, v12, s26, v20
	v_fma_f16 v20, v12, s24, v20
	v_fma_f16 v23, v18, s4, v21
	v_fma_f16 v21, v18, s4, -v21
	v_add_f16_e32 v20, v20, v24
	v_mul_f16_e32 v24, 0x3722, v19
	v_add_f16_e32 v21, v21, v25
	v_mul_f16_e32 v25, 0xbbf7, v13
	v_add_f16_e32 v22, v22, v27
	v_add_f16_e32 v23, v23, v26
	v_fma_f16 v26, v12, s3, v24
	v_fma_f16 v24, v12, s5, v24
	v_fma_f16 v27, v18, s1, v25
	v_fma_f16 v25, v18, s1, -v25
	v_add_f16_e32 v24, v24, v28
	v_mul_f16_e32 v28, 0x2de8, v19
	v_add_f16_e32 v25, v25, v29
	v_mul_f16_e32 v29, 0x3a62, v13
	v_add_f16_e32 v26, v26, v30
	;; [unrolled: 10-line block ×5, first 2 shown]
	v_add_f16_e32 v40, v40, v44
	v_fma_f16 v43, v12, s29, v41
	v_fma_f16 v41, v12, s27, v41
	;; [unrolled: 1-line block ×3, first 2 shown]
	v_fma_f16 v42, v18, s13, -v42
	v_mul_f16_e32 v13, 0xbbb2, v13
	v_add_f16_e32 v41, v41, v45
	v_mul_f16_e32 v45, 0x39e9, v19
	v_add_f16_e32 v42, v42, v46
	v_fma_f16 v46, v18, s19, v13
	v_mul_f16_e32 v19, 0xb461, v19
	v_fma_f16 v13, v18, s19, -v13
	v_add_f16_e32 v43, v43, v66
	v_add_f16_e32 v44, v44, v67
	v_fma_f16 v66, v12, s12, v45
	v_fma_f16 v45, v12, s14, v45
	v_fma_f16 v67, v12, s20, v19
	v_add_f16_e32 v13, v13, v17
	v_fma_f16 v12, v12, s15, v19
	v_add_f16_e32 v17, v9, v11
	v_sub_f16_e32 v9, v9, v11
	v_add_f16_e32 v12, v12, v16
	v_add_f16_e32 v16, v8, v10
	v_sub_f16_e32 v8, v8, v10
	v_mul_f16_e32 v10, 0xb1e1, v9
	v_fma_f16 v11, v16, s28, v10
	v_add_f16_e32 v11, v11, v15
	v_mul_f16_e32 v15, 0xbbdd, v17
	v_fma_f16 v10, v16, s28, -v10
	v_add_f16_e32 v10, v10, v14
	v_fma_f16 v14, v8, s27, v15
	v_fma_f16 v18, v8, s29, v15
	v_add_f16_e32 v14, v14, v20
	v_mul_f16_e32 v15, 0x35c8, v9
	v_mul_f16_e32 v20, 0x3b76, v17
	v_add_f16_e32 v18, v18, v22
	v_fma_f16 v19, v16, s17, v15
	v_fma_f16 v22, v8, s16, v20
	v_fma_f16 v15, v16, s17, -v15
	v_fma_f16 v20, v8, s18, v20
	v_add_f16_e32 v15, v15, v21
	v_add_f16_e32 v20, v20, v24
	v_mul_f16_e32 v21, 0xb836, v9
	v_mul_f16_e32 v24, 0xbacd, v17
	v_add_f16_e32 v19, v19, v23
	v_add_f16_e32 v22, v22, v26
	v_fma_f16 v23, v16, s25, v21
	v_fma_f16 v26, v8, s26, v24
	v_fma_f16 v21, v16, s25, -v21
	v_fma_f16 v24, v8, s24, v24
	v_add_f16_e32 v21, v21, v25
	v_add_f16_e32 v24, v24, v28
	v_mul_f16_e32 v25, 0x3964, v9
	v_mul_f16_e32 v28, 0x39e9, v17
	v_add_f16_e32 v23, v23, v27
	v_add_f16_e32 v26, v26, v30
	v_fma_f16 v27, v16, s13, v25
	v_fma_f16 v30, v8, s12, v28
	v_fma_f16 v25, v16, s13, -v25
	v_fma_f16 v28, v8, s14, v28
	v_add_f16_e32 v86, v86, v88
	v_add_f16_e32 v25, v25, v29
	;; [unrolled: 1-line block ×3, first 2 shown]
	v_mul_f16_e32 v29, 0xba62, v9
	v_mul_f16_e32 v33, 0xb8d2, v17
	v_add_f16_e32 v85, v85, v89
	v_add_f16_e32 v87, v87, v90
	v_add_f16_e32 v82, v82, v86
	v_add_f16_e32 v27, v27, v31
	v_add_f16_e32 v30, v30, v35
	v_fma_f16 v31, v16, s22, v29
	v_fma_f16 v35, v8, s23, v33
	v_fma_f16 v29, v16, s22, -v29
	v_fma_f16 v33, v8, s21, v33
	v_add_f16_e32 v81, v81, v85
	v_add_f16_e32 v83, v83, v87
	;; [unrolled: 1-line block ×5, first 2 shown]
	v_mul_f16_e32 v34, 0x3b29, v9
	v_mul_f16_e32 v37, 0x3722, v17
	v_add_f16_e32 v80, v80, v84
	v_add_f16_e32 v77, v77, v81
	;; [unrolled: 1-line block ×6, first 2 shown]
	v_fma_f16 v36, v16, s4, v34
	v_fma_f16 v39, v8, s3, v37
	v_fma_f16 v34, v16, s4, -v34
	v_fma_f16 v37, v8, s5, v37
	v_add_f16_e32 v76, v76, v80
	v_add_f16_e32 v73, v73, v77
	;; [unrolled: 1-line block ×6, first 2 shown]
	v_mul_f16_e32 v38, 0xbbb2, v9
	v_mul_f16_e32 v41, 0xb461, v17
	v_pack_b32_f16 v3, v3, v7
	v_pack_b32_f16 v7, v11, v18
	v_add_f16_e32 v72, v72, v76
	v_add_f16_e32 v69, v69, v73
	;; [unrolled: 1-line block ×6, first 2 shown]
	v_fma_f16 v40, v16, s19, v38
	v_fma_f16 v43, v8, s20, v41
	v_fma_f16 v38, v16, s19, -v38
	v_mul_f16_e32 v9, 0x3bf7, v9
	v_mul_f16_e32 v17, 0x2de8, v17
	ds_write2_b32 v47, v3, v7 offset1:85
	v_pack_b32_f16 v3, v19, v22
	v_pack_b32_f16 v7, v23, v26
	v_add_f16_e32 v68, v68, v72
	v_add_f16_e32 v46, v46, v69
	v_add_f16_e32 v67, v67, v71
	v_add_f16_e32 v40, v40, v44
	v_add_f16_e32 v43, v43, v66
	v_add_f16_e32 v38, v38, v42
	v_fma_f16 v41, v8, s15, v41
	v_fma_f16 v42, v16, s1, v9
	;; [unrolled: 1-line block ×3, first 2 shown]
	v_fma_f16 v9, v16, s1, -v9
	v_fma_f16 v8, v8, s2, v17
	ds_write2_b32 v47, v3, v7 offset0:170 offset1:255
	v_pack_b32_f16 v3, v27, v30
	v_pack_b32_f16 v7, v31, v35
	v_add_f16_e32 v45, v45, v68
	v_add_f16_e32 v42, v42, v46
	;; [unrolled: 1-line block ×5, first 2 shown]
	ds_write2_b32 v6, v3, v7 offset0:84 offset1:169
	v_pack_b32_f16 v3, v36, v39
	v_pack_b32_f16 v7, v40, v43
	v_add_f16_e32 v41, v41, v45
	ds_write2_b32 v5, v3, v7 offset0:126 offset1:211
	v_pack_b32_f16 v3, v42, v44
	v_pack_b32_f16 v7, v9, v8
	ds_write2_b32 v4, v3, v7 offset0:168 offset1:253
	v_pack_b32_f16 v3, v38, v41
	v_pack_b32_f16 v7, v34, v37
	ds_write2_b32 v2, v3, v7 offset0:82 offset1:167
	v_pack_b32_f16 v3, v29, v33
	v_pack_b32_f16 v7, v25, v28
	ds_write2_b32 v1, v3, v7 offset0:124 offset1:209
	v_pack_b32_f16 v3, v21, v24
	v_pack_b32_f16 v7, v15, v20
	ds_write2_b32 v0, v3, v7 offset0:166 offset1:251
	v_pack_b32_f16 v3, v10, v14
	ds_write_b32 v47, v3 offset:5440
	s_waitcnt lgkmcnt(0)
	s_barrier
	ds_read2_b32 v[7:8], v47 offset1:85
	s_mov_b32 s2, 0xda71079e
	s_mov_b32 s3, 0x3f46ad43
	v_mad_u64_u32 v[9:10], s[0:1], s10, v32, 0
	s_waitcnt lgkmcnt(0)
	v_lshrrev_b32_e32 v15, 16, v7
	v_mul_f16_sdwa v3, v65, v15 dst_sel:DWORD dst_unused:UNUSED_PAD src0_sel:WORD_1 src1_sel:DWORD
	v_fma_f16 v3, v65, v7, v3
	v_cvt_f32_f16_e32 v3, v3
	s_movk_i32 s4, 0x1ff
	s_movk_i32 s5, 0xffe
	v_mul_f16_sdwa v7, v65, v7 dst_sel:DWORD dst_unused:UNUSED_PAD src0_sel:WORD_1 src1_sel:DWORD
	v_cvt_f64_f32_e32 v[11:12], v3
	v_mov_b32_e32 v3, v10
	v_mad_u64_u32 v[13:14], s[0:1], s11, v32, v[3:4]
	v_mul_f64 v[11:12], v[11:12], s[2:3]
	v_fma_f16 v7, v65, v15, -v7
	v_mov_b32_e32 v10, v13
	v_cvt_f32_f16_e32 v7, v7
	s_movk_i32 s10, 0x40f
	s_mov_b32 s11, 0x8000
	v_lshlrev_b64 v[9:10], 2, v[9:10]
	v_and_or_b32 v3, v12, s4, v11
	v_cmp_ne_u32_e32 vcc, 0, v3
	v_cndmask_b32_e64 v3, 0, 1, vcc
	v_lshrrev_b32_e32 v11, 8, v12
	v_bfe_u32 v13, v12, 20, 11
	v_and_or_b32 v11, v11, s5, v3
	v_sub_u32_e32 v14, 0x3f1, v13
	v_or_b32_e32 v3, 0x1000, v11
	v_med3_i32 v14, v14, 0, 13
	v_lshrrev_b32_e32 v16, v14, v3
	v_lshlrev_b32_e32 v14, v14, v16
	v_cmp_ne_u32_e32 vcc, v14, v3
	v_cndmask_b32_e64 v3, 0, 1, vcc
	v_or_b32_e32 v3, v16, v3
	v_add_u32_e32 v16, 0xfffffc10, v13
	v_lshl_or_b32 v13, v16, 12, v11
	v_cmp_gt_i32_e32 vcc, 1, v16
	v_cndmask_b32_e32 v3, v13, v3, vcc
	v_and_b32_e32 v13, 7, v3
	v_cmp_lt_i32_e32 vcc, 5, v13
	v_cmp_eq_u32_e64 s[0:1], 3, v13
	v_cvt_f64_f32_e32 v[13:14], v7
	v_lshrrev_b32_e32 v3, 2, v3
	s_or_b64 vcc, s[0:1], vcc
	v_addc_co_u32_e32 v15, vcc, 0, v3, vcc
	v_mul_f64 v[13:14], v[13:14], s[2:3]
	v_mov_b32_e32 v3, 0x7c00
	v_cmp_gt_i32_e32 vcc, 31, v16
	v_cndmask_b32_e32 v7, v3, v15, vcc
	v_cmp_ne_u32_e32 vcc, 0, v11
	v_cndmask_b32_e64 v11, 0, 1, vcc
	v_lshl_or_b32 v11, v11, 9, v3
	v_cmp_eq_u32_e32 vcc, s10, v16
	v_cndmask_b32_e32 v7, v7, v11, vcc
	v_lshrrev_b32_e32 v11, 16, v12
	v_and_or_b32 v15, v11, s11, v7
	v_and_or_b32 v7, v14, s4, v13
	v_cmp_ne_u32_e32 vcc, 0, v7
	v_cndmask_b32_e64 v7, 0, 1, vcc
	v_lshrrev_b32_e32 v11, 8, v14
	v_bfe_u32 v12, v14, 20, 11
	v_and_or_b32 v7, v11, s5, v7
	v_sub_u32_e32 v13, 0x3f1, v12
	v_or_b32_e32 v11, 0x1000, v7
	v_med3_i32 v13, v13, 0, 13
	v_lshrrev_b32_e32 v16, v13, v11
	v_lshlrev_b32_e32 v13, v13, v16
	v_cmp_ne_u32_e32 vcc, v13, v11
	v_cndmask_b32_e64 v11, 0, 1, vcc
	v_add_u32_e32 v13, 0xfffffc10, v12
	v_or_b32_e32 v11, v16, v11
	v_lshl_or_b32 v12, v13, 12, v7
	v_cmp_gt_i32_e32 vcc, 1, v13
	v_cndmask_b32_e32 v11, v12, v11, vcc
	v_and_b32_e32 v12, 7, v11
	v_cmp_lt_i32_e32 vcc, 5, v12
	v_cmp_eq_u32_e64 s[0:1], 3, v12
	v_lshrrev_b32_e32 v11, 2, v11
	s_or_b64 vcc, s[0:1], vcc
	v_addc_co_u32_e32 v11, vcc, 0, v11, vcc
	v_cmp_gt_i32_e32 vcc, 31, v13
	v_cndmask_b32_e32 v16, v3, v11, vcc
	v_mad_u64_u32 v[11:12], s[0:1], s8, v63, 0
	v_cmp_ne_u32_e32 vcc, 0, v7
	v_cndmask_b32_e64 v7, 0, 1, vcc
	v_lshl_or_b32 v7, v7, 9, v3
	v_cmp_eq_u32_e32 vcc, s10, v13
	v_cndmask_b32_e32 v16, v16, v7, vcc
	v_mov_b32_e32 v7, v12
	v_mad_u64_u32 v[12:13], s[0:1], s9, v63, v[7:8]
	v_lshrrev_b32_e32 v7, 16, v8
	v_mul_f16_sdwa v13, v64, v7 dst_sel:DWORD dst_unused:UNUSED_PAD src0_sel:WORD_1 src1_sel:DWORD
	v_fma_f16 v13, v64, v8, v13
	v_cvt_f32_f16_e32 v13, v13
	v_lshrrev_b32_e32 v14, 16, v14
	v_and_or_b32 v16, v14, s11, v16
	v_and_b32_e32 v15, 0xffff, v15
	v_cvt_f64_f32_e32 v[13:14], v13
	v_lshl_or_b32 v15, v16, 16, v15
	v_mov_b32_e32 v16, s7
	v_add_co_u32_e32 v17, vcc, s6, v9
	v_mul_f64 v[13:14], v[13:14], s[2:3]
	v_addc_co_u32_e32 v16, vcc, v16, v10, vcc
	v_lshlrev_b64 v[9:10], 2, v[11:12]
	v_mul_f16_sdwa v8, v64, v8 dst_sel:DWORD dst_unused:UNUSED_PAD src0_sel:WORD_1 src1_sel:DWORD
	v_add_co_u32_e32 v9, vcc, v17, v9
	v_addc_co_u32_e32 v10, vcc, v16, v10, vcc
	v_and_or_b32 v11, v14, s4, v13
	v_cmp_ne_u32_e32 vcc, 0, v11
	v_fma_f16 v7, v64, v7, -v8
	v_cndmask_b32_e64 v11, 0, 1, vcc
	v_lshrrev_b32_e32 v12, 8, v14
	v_bfe_u32 v13, v14, 20, 11
	v_cvt_f32_f16_e32 v7, v7
	global_store_dword v[9:10], v15, off
	v_and_or_b32 v11, v12, s5, v11
	v_sub_u32_e32 v15, 0x3f1, v13
	v_or_b32_e32 v12, 0x1000, v11
	v_med3_i32 v15, v15, 0, 13
	v_lshrrev_b32_e32 v16, v15, v12
	v_lshlrev_b32_e32 v15, v15, v16
	v_cvt_f64_f32_e32 v[7:8], v7
	v_cmp_ne_u32_e32 vcc, v15, v12
	v_cndmask_b32_e64 v12, 0, 1, vcc
	v_add_u32_e32 v13, 0xfffffc10, v13
	v_or_b32_e32 v12, v16, v12
	v_lshl_or_b32 v15, v13, 12, v11
	v_cmp_gt_i32_e32 vcc, 1, v13
	v_cndmask_b32_e32 v12, v15, v12, vcc
	v_mul_f64 v[7:8], v[7:8], s[2:3]
	v_and_b32_e32 v15, 7, v12
	v_cmp_lt_i32_e32 vcc, 5, v15
	v_cmp_eq_u32_e64 s[0:1], 3, v15
	v_lshrrev_b32_e32 v12, 2, v12
	s_or_b64 vcc, s[0:1], vcc
	v_addc_co_u32_e32 v12, vcc, 0, v12, vcc
	v_cmp_gt_i32_e32 vcc, 31, v13
	v_cndmask_b32_e32 v12, v3, v12, vcc
	v_cmp_ne_u32_e32 vcc, 0, v11
	v_cndmask_b32_e64 v11, 0, 1, vcc
	v_lshl_or_b32 v11, v11, 9, v3
	v_cmp_eq_u32_e32 vcc, s10, v13
	v_and_or_b32 v7, v8, s4, v7
	v_cndmask_b32_e32 v11, v12, v11, vcc
	v_lshrrev_b32_e32 v12, 16, v14
	v_cmp_ne_u32_e32 vcc, 0, v7
	v_and_or_b32 v13, v12, s11, v11
	v_cndmask_b32_e64 v7, 0, 1, vcc
	v_lshrrev_b32_e32 v11, 8, v8
	v_bfe_u32 v12, v8, 20, 11
	v_and_or_b32 v7, v11, s5, v7
	v_sub_u32_e32 v14, 0x3f1, v12
	v_or_b32_e32 v11, 0x1000, v7
	v_med3_i32 v14, v14, 0, 13
	v_lshrrev_b32_e32 v15, v14, v11
	v_lshlrev_b32_e32 v14, v14, v15
	v_cmp_ne_u32_e32 vcc, v14, v11
	v_cndmask_b32_e64 v11, 0, 1, vcc
	v_add_u32_e32 v14, 0xfffffc10, v12
	v_or_b32_e32 v11, v15, v11
	v_lshl_or_b32 v12, v14, 12, v7
	v_cmp_gt_i32_e32 vcc, 1, v14
	v_cndmask_b32_e32 v11, v12, v11, vcc
	v_and_b32_e32 v12, 7, v11
	v_cmp_lt_i32_e32 vcc, 5, v12
	v_cmp_eq_u32_e64 s[0:1], 3, v12
	v_lshrrev_b32_e32 v11, 2, v11
	s_or_b64 vcc, s[0:1], vcc
	v_addc_co_u32_e32 v11, vcc, 0, v11, vcc
	v_cmp_gt_i32_e32 vcc, 31, v14
	v_cndmask_b32_e32 v15, v3, v11, vcc
	ds_read2_b32 v[11:12], v47 offset0:170 offset1:255
	v_cmp_ne_u32_e32 vcc, 0, v7
	v_cndmask_b32_e64 v7, 0, 1, vcc
	v_lshl_or_b32 v7, v7, 9, v3
	v_cmp_eq_u32_e32 vcc, s10, v14
	s_waitcnt lgkmcnt(0)
	v_lshrrev_b32_e32 v14, 16, v11
	v_cndmask_b32_e32 v7, v15, v7, vcc
	v_mul_f16_sdwa v15, v62, v14 dst_sel:DWORD dst_unused:UNUSED_PAD src0_sel:WORD_1 src1_sel:DWORD
	v_fma_f16 v15, v62, v11, v15
	v_cvt_f32_f16_e32 v15, v15
	v_lshrrev_b32_e32 v8, 16, v8
	v_and_or_b32 v7, v8, s11, v7
	v_and_b32_e32 v8, 0xffff, v13
	v_lshl_or_b32 v13, v7, 16, v8
	v_cvt_f64_f32_e32 v[7:8], v15
	s_mul_i32 s0, s9, 0x154
	s_mul_hi_u32 s6, s8, 0x154
	s_add_i32 s6, s6, s0
	v_mul_f64 v[7:8], v[7:8], s[2:3]
	s_mul_i32 s7, s8, 0x154
	v_mov_b32_e32 v15, s6
	v_add_co_u32_e32 v9, vcc, s7, v9
	v_addc_co_u32_e32 v10, vcc, v10, v15, vcc
	global_store_dword v[9:10], v13, off
	v_and_or_b32 v7, v8, s4, v7
	v_cmp_ne_u32_e32 vcc, 0, v7
	v_cndmask_b32_e64 v7, 0, 1, vcc
	v_lshrrev_b32_e32 v13, 8, v8
	v_bfe_u32 v15, v8, 20, 11
	v_and_or_b32 v7, v13, s5, v7
	v_sub_u32_e32 v16, 0x3f1, v15
	v_or_b32_e32 v13, 0x1000, v7
	v_med3_i32 v16, v16, 0, 13
	v_lshrrev_b32_e32 v17, v16, v13
	v_lshlrev_b32_e32 v16, v16, v17
	v_mul_f16_sdwa v11, v62, v11 dst_sel:DWORD dst_unused:UNUSED_PAD src0_sel:WORD_1 src1_sel:DWORD
	v_cmp_ne_u32_e32 vcc, v16, v13
	v_fma_f16 v11, v62, v14, -v11
	v_cndmask_b32_e64 v13, 0, 1, vcc
	v_add_u32_e32 v15, 0xfffffc10, v15
	v_cvt_f32_f16_e32 v11, v11
	v_or_b32_e32 v13, v17, v13
	v_lshl_or_b32 v16, v15, 12, v7
	v_cmp_gt_i32_e32 vcc, 1, v15
	v_cndmask_b32_e32 v13, v16, v13, vcc
	v_and_b32_e32 v16, 7, v13
	v_cmp_lt_i32_e32 vcc, 5, v16
	v_cmp_eq_u32_e64 s[0:1], 3, v16
	v_lshrrev_b32_e32 v16, 2, v13
	v_cvt_f64_f32_e32 v[13:14], v11
	s_or_b64 vcc, s[0:1], vcc
	v_addc_co_u32_e32 v11, vcc, 0, v16, vcc
	v_mul_f64 v[13:14], v[13:14], s[2:3]
	v_cmp_gt_i32_e32 vcc, 31, v15
	v_cndmask_b32_e32 v11, v3, v11, vcc
	v_cmp_ne_u32_e32 vcc, 0, v7
	v_cndmask_b32_e64 v7, 0, 1, vcc
	v_lshl_or_b32 v7, v7, 9, v3
	v_cmp_eq_u32_e32 vcc, s10, v15
	v_cndmask_b32_e32 v7, v11, v7, vcc
	v_lshrrev_b32_e32 v8, 16, v8
	v_and_or_b32 v11, v8, s11, v7
	v_and_or_b32 v7, v14, s4, v13
	v_cmp_ne_u32_e32 vcc, 0, v7
	v_cndmask_b32_e64 v7, 0, 1, vcc
	v_lshrrev_b32_e32 v8, 8, v14
	v_bfe_u32 v13, v14, 20, 11
	v_and_or_b32 v7, v8, s5, v7
	v_sub_u32_e32 v15, 0x3f1, v13
	v_or_b32_e32 v8, 0x1000, v7
	v_med3_i32 v15, v15, 0, 13
	v_lshrrev_b32_e32 v16, v15, v8
	v_lshlrev_b32_e32 v15, v15, v16
	v_cmp_ne_u32_e32 vcc, v15, v8
	v_cndmask_b32_e64 v8, 0, 1, vcc
	v_add_u32_e32 v13, 0xfffffc10, v13
	v_or_b32_e32 v8, v16, v8
	v_lshl_or_b32 v15, v13, 12, v7
	v_cmp_gt_i32_e32 vcc, 1, v13
	v_cndmask_b32_e32 v8, v15, v8, vcc
	v_and_b32_e32 v15, 7, v8
	v_cmp_lt_i32_e32 vcc, 5, v15
	v_cmp_eq_u32_e64 s[0:1], 3, v15
	v_lshrrev_b32_e32 v15, 16, v12
	v_lshrrev_b32_e32 v8, 2, v8
	s_or_b64 vcc, s[0:1], vcc
	v_mul_f16_sdwa v16, v61, v15 dst_sel:DWORD dst_unused:UNUSED_PAD src0_sel:WORD_1 src1_sel:DWORD
	v_addc_co_u32_e32 v8, vcc, 0, v8, vcc
	v_fma_f16 v16, v61, v12, v16
	v_cmp_gt_i32_e32 vcc, 31, v13
	v_cvt_f32_f16_e32 v16, v16
	v_cndmask_b32_e32 v8, v3, v8, vcc
	v_cmp_ne_u32_e32 vcc, 0, v7
	v_cndmask_b32_e64 v7, 0, 1, vcc
	v_lshl_or_b32 v7, v7, 9, v3
	v_cmp_eq_u32_e32 vcc, s10, v13
	v_cndmask_b32_e32 v13, v8, v7, vcc
	v_cvt_f64_f32_e32 v[7:8], v16
	v_lshrrev_b32_e32 v14, 16, v14
	v_and_or_b32 v13, v14, s11, v13
	v_and_b32_e32 v11, 0xffff, v11
	v_mul_f64 v[7:8], v[7:8], s[2:3]
	v_lshl_or_b32 v11, v13, 16, v11
	v_mov_b32_e32 v13, s6
	v_add_co_u32_e32 v9, vcc, s7, v9
	v_addc_co_u32_e32 v10, vcc, v10, v13, vcc
	global_store_dword v[9:10], v11, off
	v_and_or_b32 v7, v8, s4, v7
	v_cmp_ne_u32_e32 vcc, 0, v7
	v_cndmask_b32_e64 v7, 0, 1, vcc
	v_lshrrev_b32_e32 v11, 8, v8
	v_bfe_u32 v13, v8, 20, 11
	v_and_or_b32 v7, v11, s5, v7
	v_sub_u32_e32 v14, 0x3f1, v13
	v_or_b32_e32 v11, 0x1000, v7
	v_med3_i32 v14, v14, 0, 13
	v_lshrrev_b32_e32 v16, v14, v11
	v_lshlrev_b32_e32 v14, v14, v16
	v_mul_f16_sdwa v12, v61, v12 dst_sel:DWORD dst_unused:UNUSED_PAD src0_sel:WORD_1 src1_sel:DWORD
	v_cmp_ne_u32_e32 vcc, v14, v11
	v_fma_f16 v12, v61, v15, -v12
	v_cndmask_b32_e64 v11, 0, 1, vcc
	v_add_u32_e32 v13, 0xfffffc10, v13
	v_cvt_f32_f16_e32 v12, v12
	v_or_b32_e32 v11, v16, v11
	v_lshl_or_b32 v14, v13, 12, v7
	v_cmp_gt_i32_e32 vcc, 1, v13
	v_cndmask_b32_e32 v11, v14, v11, vcc
	v_and_b32_e32 v14, 7, v11
	v_cmp_lt_i32_e32 vcc, 5, v14
	v_cmp_eq_u32_e64 s[0:1], 3, v14
	v_lshrrev_b32_e32 v14, 2, v11
	v_cvt_f64_f32_e32 v[11:12], v12
	s_or_b64 vcc, s[0:1], vcc
	v_addc_co_u32_e32 v14, vcc, 0, v14, vcc
	v_mul_f64 v[11:12], v[11:12], s[2:3]
	v_cmp_gt_i32_e32 vcc, 31, v13
	v_cndmask_b32_e32 v14, v3, v14, vcc
	v_cmp_ne_u32_e32 vcc, 0, v7
	v_cndmask_b32_e64 v7, 0, 1, vcc
	v_lshl_or_b32 v7, v7, 9, v3
	v_cmp_eq_u32_e32 vcc, s10, v13
	v_cndmask_b32_e32 v7, v14, v7, vcc
	v_lshrrev_b32_e32 v8, 16, v8
	v_and_or_b32 v8, v8, s11, v7
	v_and_or_b32 v7, v12, s4, v11
	v_cmp_ne_u32_e32 vcc, 0, v7
	v_cndmask_b32_e64 v7, 0, 1, vcc
	v_lshrrev_b32_e32 v11, 8, v12
	v_bfe_u32 v13, v12, 20, 11
	v_and_or_b32 v11, v11, s5, v7
	v_sub_u32_e32 v14, 0x3f1, v13
	v_or_b32_e32 v7, 0x1000, v11
	v_med3_i32 v14, v14, 0, 13
	v_lshrrev_b32_e32 v15, v14, v7
	v_lshlrev_b32_e32 v14, v14, v15
	v_cmp_ne_u32_e32 vcc, v14, v7
	v_cndmask_b32_e64 v7, 0, 1, vcc
	v_add_u32_e32 v13, 0xfffffc10, v13
	v_or_b32_e32 v7, v15, v7
	v_lshl_or_b32 v14, v13, 12, v11
	v_cmp_gt_i32_e32 vcc, 1, v13
	v_cndmask_b32_e32 v7, v14, v7, vcc
	v_and_b32_e32 v14, 7, v7
	v_cmp_lt_i32_e32 vcc, 5, v14
	v_cmp_eq_u32_e64 s[0:1], 3, v14
	v_lshrrev_b32_e32 v7, 2, v7
	s_or_b64 vcc, s[0:1], vcc
	v_addc_co_u32_e32 v14, vcc, 0, v7, vcc
	ds_read2_b32 v[6:7], v6 offset0:84 offset1:169
	v_cmp_gt_i32_e32 vcc, 31, v13
	v_cndmask_b32_e32 v14, v3, v14, vcc
	v_cmp_ne_u32_e32 vcc, 0, v11
	v_cndmask_b32_e64 v11, 0, 1, vcc
	s_waitcnt lgkmcnt(0)
	v_lshrrev_b32_e32 v15, 16, v6
	v_mul_f16_sdwa v16, v60, v15 dst_sel:DWORD dst_unused:UNUSED_PAD src0_sel:WORD_1 src1_sel:DWORD
	v_fma_f16 v16, v60, v6, v16
	v_cvt_f32_f16_e32 v16, v16
	v_lshl_or_b32 v11, v11, 9, v3
	v_cmp_eq_u32_e32 vcc, s10, v13
	v_cndmask_b32_e32 v11, v14, v11, vcc
	v_cvt_f64_f32_e32 v[13:14], v16
	v_lshrrev_b32_e32 v12, 16, v12
	v_and_or_b32 v16, v12, s11, v11
	v_and_b32_e32 v8, 0xffff, v8
	v_mul_f64 v[11:12], v[13:14], s[2:3]
	v_lshl_or_b32 v13, v16, 16, v8
	v_mov_b32_e32 v14, s6
	v_add_co_u32_e32 v8, vcc, s7, v9
	v_addc_co_u32_e32 v9, vcc, v10, v14, vcc
	global_store_dword v[8:9], v13, off
	v_and_or_b32 v10, v12, s4, v11
	v_cmp_ne_u32_e32 vcc, 0, v10
	v_cndmask_b32_e64 v10, 0, 1, vcc
	v_lshrrev_b32_e32 v11, 8, v12
	v_and_or_b32 v13, v11, s5, v10
	v_bfe_u32 v11, v12, 20, 11
	v_sub_u32_e32 v14, 0x3f1, v11
	v_or_b32_e32 v10, 0x1000, v13
	v_med3_i32 v14, v14, 0, 13
	v_lshrrev_b32_e32 v16, v14, v10
	v_lshlrev_b32_e32 v14, v14, v16
	v_mul_f16_sdwa v6, v60, v6 dst_sel:DWORD dst_unused:UNUSED_PAD src0_sel:WORD_1 src1_sel:DWORD
	v_cmp_ne_u32_e32 vcc, v14, v10
	v_fma_f16 v6, v60, v15, -v6
	v_cndmask_b32_e64 v10, 0, 1, vcc
	v_add_u32_e32 v14, 0xfffffc10, v11
	v_cvt_f32_f16_e32 v6, v6
	v_or_b32_e32 v10, v16, v10
	v_lshl_or_b32 v11, v14, 12, v13
	v_cmp_gt_i32_e32 vcc, 1, v14
	v_cndmask_b32_e32 v10, v11, v10, vcc
	v_and_b32_e32 v11, 7, v10
	v_cmp_lt_i32_e32 vcc, 5, v11
	v_cmp_eq_u32_e64 s[0:1], 3, v11
	v_lshrrev_b32_e32 v15, 2, v10
	v_cvt_f64_f32_e32 v[10:11], v6
	s_or_b64 vcc, s[0:1], vcc
	v_addc_co_u32_e32 v6, vcc, 0, v15, vcc
	v_mul_f64 v[10:11], v[10:11], s[2:3]
	v_cmp_gt_i32_e32 vcc, 31, v14
	v_cndmask_b32_e32 v6, v3, v6, vcc
	v_cmp_ne_u32_e32 vcc, 0, v13
	v_cndmask_b32_e64 v13, 0, 1, vcc
	v_lshl_or_b32 v13, v13, 9, v3
	v_cmp_eq_u32_e32 vcc, s10, v14
	v_cndmask_b32_e32 v6, v6, v13, vcc
	v_and_or_b32 v10, v11, s4, v10
	v_lshrrev_b32_e32 v12, 16, v12
	v_cmp_ne_u32_e32 vcc, 0, v10
	v_and_or_b32 v6, v12, s11, v6
	v_cndmask_b32_e64 v10, 0, 1, vcc
	v_lshrrev_b32_e32 v12, 8, v11
	v_bfe_u32 v13, v11, 20, 11
	v_and_or_b32 v10, v12, s5, v10
	v_sub_u32_e32 v14, 0x3f1, v13
	v_or_b32_e32 v12, 0x1000, v10
	v_med3_i32 v14, v14, 0, 13
	v_lshrrev_b32_e32 v15, v14, v12
	v_lshlrev_b32_e32 v14, v14, v15
	v_cmp_ne_u32_e32 vcc, v14, v12
	v_cndmask_b32_e64 v12, 0, 1, vcc
	v_add_u32_e32 v13, 0xfffffc10, v13
	v_or_b32_e32 v12, v15, v12
	v_lshl_or_b32 v14, v13, 12, v10
	v_cmp_gt_i32_e32 vcc, 1, v13
	v_cndmask_b32_e32 v12, v14, v12, vcc
	v_and_b32_e32 v14, 7, v12
	v_cmp_lt_i32_e32 vcc, 5, v14
	v_cmp_eq_u32_e64 s[0:1], 3, v14
	v_lshrrev_b32_e32 v14, 16, v7
	v_lshrrev_b32_e32 v12, 2, v12
	s_or_b64 vcc, s[0:1], vcc
	v_mul_f16_sdwa v15, v59, v14 dst_sel:DWORD dst_unused:UNUSED_PAD src0_sel:WORD_1 src1_sel:DWORD
	v_addc_co_u32_e32 v12, vcc, 0, v12, vcc
	v_fma_f16 v15, v59, v7, v15
	v_cmp_gt_i32_e32 vcc, 31, v13
	v_cvt_f32_f16_e32 v15, v15
	v_cndmask_b32_e32 v12, v3, v12, vcc
	v_cmp_ne_u32_e32 vcc, 0, v10
	v_cndmask_b32_e64 v10, 0, 1, vcc
	v_lshl_or_b32 v10, v10, 9, v3
	v_cmp_eq_u32_e32 vcc, s10, v13
	v_cndmask_b32_e32 v10, v12, v10, vcc
	v_cvt_f64_f32_e32 v[12:13], v15
	v_lshrrev_b32_e32 v11, 16, v11
	v_and_or_b32 v15, v11, s11, v10
	v_and_b32_e32 v6, 0xffff, v6
	v_mul_f64 v[10:11], v[12:13], s[2:3]
	v_mov_b32_e32 v12, s6
	v_add_co_u32_e32 v8, vcc, s7, v8
	v_lshl_or_b32 v6, v15, 16, v6
	v_addc_co_u32_e32 v9, vcc, v9, v12, vcc
	global_store_dword v[8:9], v6, off
	v_and_or_b32 v6, v11, s4, v10
	v_cmp_ne_u32_e32 vcc, 0, v6
	v_cndmask_b32_e64 v6, 0, 1, vcc
	v_lshrrev_b32_e32 v10, 8, v11
	v_bfe_u32 v12, v11, 20, 11
	v_and_or_b32 v10, v10, s5, v6
	v_sub_u32_e32 v13, 0x3f1, v12
	v_or_b32_e32 v6, 0x1000, v10
	v_med3_i32 v13, v13, 0, 13
	v_lshrrev_b32_e32 v15, v13, v6
	v_lshlrev_b32_e32 v13, v13, v15
	v_mul_f16_sdwa v7, v59, v7 dst_sel:DWORD dst_unused:UNUSED_PAD src0_sel:WORD_1 src1_sel:DWORD
	v_cmp_ne_u32_e32 vcc, v13, v6
	v_fma_f16 v7, v59, v14, -v7
	v_cndmask_b32_e64 v6, 0, 1, vcc
	v_add_u32_e32 v12, 0xfffffc10, v12
	v_cvt_f32_f16_e32 v7, v7
	v_or_b32_e32 v6, v15, v6
	v_lshl_or_b32 v13, v12, 12, v10
	v_cmp_gt_i32_e32 vcc, 1, v12
	v_cndmask_b32_e32 v6, v13, v6, vcc
	v_and_b32_e32 v13, 7, v6
	v_cmp_lt_i32_e32 vcc, 5, v13
	v_cmp_eq_u32_e64 s[0:1], 3, v13
	v_lshrrev_b32_e32 v13, 2, v6
	v_cvt_f64_f32_e32 v[6:7], v7
	s_or_b64 vcc, s[0:1], vcc
	v_addc_co_u32_e32 v13, vcc, 0, v13, vcc
	v_mul_f64 v[6:7], v[6:7], s[2:3]
	v_cmp_gt_i32_e32 vcc, 31, v12
	v_cndmask_b32_e32 v13, v3, v13, vcc
	v_cmp_ne_u32_e32 vcc, 0, v10
	v_cndmask_b32_e64 v10, 0, 1, vcc
	v_lshl_or_b32 v10, v10, 9, v3
	v_cmp_eq_u32_e32 vcc, s10, v12
	v_cndmask_b32_e32 v10, v13, v10, vcc
	v_and_or_b32 v6, v7, s4, v6
	v_lshrrev_b32_e32 v11, 16, v11
	v_cmp_ne_u32_e32 vcc, 0, v6
	v_and_or_b32 v12, v11, s11, v10
	v_cndmask_b32_e64 v6, 0, 1, vcc
	v_lshrrev_b32_e32 v10, 8, v7
	v_bfe_u32 v11, v7, 20, 11
	v_and_or_b32 v10, v10, s5, v6
	v_sub_u32_e32 v13, 0x3f1, v11
	v_or_b32_e32 v6, 0x1000, v10
	v_med3_i32 v13, v13, 0, 13
	v_lshrrev_b32_e32 v14, v13, v6
	v_lshlrev_b32_e32 v13, v13, v14
	v_cmp_ne_u32_e32 vcc, v13, v6
	v_cndmask_b32_e64 v6, 0, 1, vcc
	v_add_u32_e32 v11, 0xfffffc10, v11
	v_or_b32_e32 v6, v14, v6
	v_lshl_or_b32 v13, v11, 12, v10
	v_cmp_gt_i32_e32 vcc, 1, v11
	v_cndmask_b32_e32 v6, v13, v6, vcc
	v_and_b32_e32 v13, 7, v6
	v_cmp_lt_i32_e32 vcc, 5, v13
	v_cmp_eq_u32_e64 s[0:1], 3, v13
	v_lshrrev_b32_e32 v6, 2, v6
	s_or_b64 vcc, s[0:1], vcc
	v_addc_co_u32_e32 v13, vcc, 0, v6, vcc
	ds_read2_b32 v[5:6], v5 offset0:126 offset1:211
	v_cmp_gt_i32_e32 vcc, 31, v11
	v_cndmask_b32_e32 v13, v3, v13, vcc
	v_cmp_ne_u32_e32 vcc, 0, v10
	v_cndmask_b32_e64 v10, 0, 1, vcc
	s_waitcnt lgkmcnt(0)
	v_lshrrev_b32_e32 v14, 16, v5
	v_mul_f16_sdwa v15, v58, v14 dst_sel:DWORD dst_unused:UNUSED_PAD src0_sel:WORD_1 src1_sel:DWORD
	v_fma_f16 v15, v58, v5, v15
	v_cvt_f32_f16_e32 v15, v15
	v_lshl_or_b32 v10, v10, 9, v3
	v_cmp_eq_u32_e32 vcc, s10, v11
	v_cndmask_b32_e32 v13, v13, v10, vcc
	v_cvt_f64_f32_e32 v[10:11], v15
	v_lshrrev_b32_e32 v7, 16, v7
	v_and_or_b32 v7, v7, s11, v13
	v_and_b32_e32 v12, 0xffff, v12
	v_mul_f64 v[10:11], v[10:11], s[2:3]
	v_lshl_or_b32 v12, v7, 16, v12
	v_mov_b32_e32 v13, s6
	v_add_co_u32_e32 v7, vcc, s7, v8
	v_addc_co_u32_e32 v8, vcc, v9, v13, vcc
	global_store_dword v[7:8], v12, off
	v_and_or_b32 v9, v11, s4, v10
	v_cmp_ne_u32_e32 vcc, 0, v9
	v_cndmask_b32_e64 v9, 0, 1, vcc
	v_lshrrev_b32_e32 v10, 8, v11
	v_and_or_b32 v12, v10, s5, v9
	v_bfe_u32 v10, v11, 20, 11
	v_sub_u32_e32 v13, 0x3f1, v10
	v_or_b32_e32 v9, 0x1000, v12
	v_med3_i32 v13, v13, 0, 13
	v_lshrrev_b32_e32 v15, v13, v9
	v_lshlrev_b32_e32 v13, v13, v15
	v_mul_f16_sdwa v5, v58, v5 dst_sel:DWORD dst_unused:UNUSED_PAD src0_sel:WORD_1 src1_sel:DWORD
	v_cmp_ne_u32_e32 vcc, v13, v9
	v_fma_f16 v5, v58, v14, -v5
	v_cndmask_b32_e64 v9, 0, 1, vcc
	v_add_u32_e32 v13, 0xfffffc10, v10
	v_cvt_f32_f16_e32 v5, v5
	v_or_b32_e32 v9, v15, v9
	v_lshl_or_b32 v10, v13, 12, v12
	v_cmp_gt_i32_e32 vcc, 1, v13
	v_cndmask_b32_e32 v9, v10, v9, vcc
	v_and_b32_e32 v10, 7, v9
	v_cmp_lt_i32_e32 vcc, 5, v10
	v_cmp_eq_u32_e64 s[0:1], 3, v10
	v_lshrrev_b32_e32 v14, 2, v9
	v_cvt_f64_f32_e32 v[9:10], v5
	s_or_b64 vcc, s[0:1], vcc
	v_addc_co_u32_e32 v5, vcc, 0, v14, vcc
	v_mul_f64 v[9:10], v[9:10], s[2:3]
	v_cmp_gt_i32_e32 vcc, 31, v13
	v_cndmask_b32_e32 v5, v3, v5, vcc
	v_cmp_ne_u32_e32 vcc, 0, v12
	v_cndmask_b32_e64 v12, 0, 1, vcc
	v_lshl_or_b32 v12, v12, 9, v3
	v_cmp_eq_u32_e32 vcc, s10, v13
	v_cndmask_b32_e32 v5, v5, v12, vcc
	v_and_or_b32 v9, v10, s4, v9
	v_lshrrev_b32_e32 v11, 16, v11
	v_cmp_ne_u32_e32 vcc, 0, v9
	v_and_or_b32 v5, v11, s11, v5
	v_cndmask_b32_e64 v9, 0, 1, vcc
	v_lshrrev_b32_e32 v11, 8, v10
	v_bfe_u32 v12, v10, 20, 11
	v_and_or_b32 v9, v11, s5, v9
	v_sub_u32_e32 v13, 0x3f1, v12
	v_or_b32_e32 v11, 0x1000, v9
	v_med3_i32 v13, v13, 0, 13
	v_lshrrev_b32_e32 v14, v13, v11
	v_lshlrev_b32_e32 v13, v13, v14
	v_cmp_ne_u32_e32 vcc, v13, v11
	v_cndmask_b32_e64 v11, 0, 1, vcc
	v_add_u32_e32 v12, 0xfffffc10, v12
	v_or_b32_e32 v11, v14, v11
	v_lshl_or_b32 v13, v12, 12, v9
	v_cmp_gt_i32_e32 vcc, 1, v12
	v_cndmask_b32_e32 v11, v13, v11, vcc
	v_and_b32_e32 v13, 7, v11
	v_cmp_lt_i32_e32 vcc, 5, v13
	v_cmp_eq_u32_e64 s[0:1], 3, v13
	v_lshrrev_b32_e32 v13, 16, v6
	v_lshrrev_b32_e32 v11, 2, v11
	s_or_b64 vcc, s[0:1], vcc
	v_mul_f16_sdwa v14, v57, v13 dst_sel:DWORD dst_unused:UNUSED_PAD src0_sel:WORD_1 src1_sel:DWORD
	v_addc_co_u32_e32 v11, vcc, 0, v11, vcc
	v_fma_f16 v14, v57, v6, v14
	v_cmp_gt_i32_e32 vcc, 31, v12
	v_cvt_f32_f16_e32 v14, v14
	v_cndmask_b32_e32 v11, v3, v11, vcc
	v_cmp_ne_u32_e32 vcc, 0, v9
	v_cndmask_b32_e64 v9, 0, 1, vcc
	v_lshl_or_b32 v9, v9, 9, v3
	v_cmp_eq_u32_e32 vcc, s10, v12
	v_cndmask_b32_e32 v9, v11, v9, vcc
	v_cvt_f64_f32_e32 v[11:12], v14
	v_lshrrev_b32_e32 v10, 16, v10
	v_and_or_b32 v14, v10, s11, v9
	v_and_b32_e32 v5, 0xffff, v5
	v_mul_f64 v[9:10], v[11:12], s[2:3]
	v_mov_b32_e32 v11, s6
	v_add_co_u32_e32 v7, vcc, s7, v7
	v_lshl_or_b32 v5, v14, 16, v5
	v_addc_co_u32_e32 v8, vcc, v8, v11, vcc
	global_store_dword v[7:8], v5, off
	v_and_or_b32 v5, v10, s4, v9
	v_cmp_ne_u32_e32 vcc, 0, v5
	v_cndmask_b32_e64 v5, 0, 1, vcc
	v_lshrrev_b32_e32 v9, 8, v10
	v_bfe_u32 v11, v10, 20, 11
	v_and_or_b32 v9, v9, s5, v5
	v_sub_u32_e32 v12, 0x3f1, v11
	v_or_b32_e32 v5, 0x1000, v9
	v_med3_i32 v12, v12, 0, 13
	v_lshrrev_b32_e32 v14, v12, v5
	v_lshlrev_b32_e32 v12, v12, v14
	v_mul_f16_sdwa v6, v57, v6 dst_sel:DWORD dst_unused:UNUSED_PAD src0_sel:WORD_1 src1_sel:DWORD
	v_cmp_ne_u32_e32 vcc, v12, v5
	v_fma_f16 v6, v57, v13, -v6
	v_cndmask_b32_e64 v5, 0, 1, vcc
	v_add_u32_e32 v11, 0xfffffc10, v11
	v_cvt_f32_f16_e32 v6, v6
	v_or_b32_e32 v5, v14, v5
	v_lshl_or_b32 v12, v11, 12, v9
	v_cmp_gt_i32_e32 vcc, 1, v11
	v_cndmask_b32_e32 v5, v12, v5, vcc
	v_and_b32_e32 v12, 7, v5
	v_cmp_lt_i32_e32 vcc, 5, v12
	v_cmp_eq_u32_e64 s[0:1], 3, v12
	v_lshrrev_b32_e32 v12, 2, v5
	v_cvt_f64_f32_e32 v[5:6], v6
	s_or_b64 vcc, s[0:1], vcc
	v_addc_co_u32_e32 v12, vcc, 0, v12, vcc
	v_mul_f64 v[5:6], v[5:6], s[2:3]
	v_cmp_gt_i32_e32 vcc, 31, v11
	v_cndmask_b32_e32 v12, v3, v12, vcc
	v_cmp_ne_u32_e32 vcc, 0, v9
	v_cndmask_b32_e64 v9, 0, 1, vcc
	v_lshl_or_b32 v9, v9, 9, v3
	v_cmp_eq_u32_e32 vcc, s10, v11
	v_cndmask_b32_e32 v9, v12, v9, vcc
	v_and_or_b32 v5, v6, s4, v5
	v_lshrrev_b32_e32 v10, 16, v10
	v_cmp_ne_u32_e32 vcc, 0, v5
	v_and_or_b32 v11, v10, s11, v9
	v_cndmask_b32_e64 v5, 0, 1, vcc
	v_lshrrev_b32_e32 v9, 8, v6
	v_bfe_u32 v10, v6, 20, 11
	v_and_or_b32 v9, v9, s5, v5
	v_sub_u32_e32 v12, 0x3f1, v10
	v_or_b32_e32 v5, 0x1000, v9
	v_med3_i32 v12, v12, 0, 13
	v_lshrrev_b32_e32 v13, v12, v5
	v_lshlrev_b32_e32 v12, v12, v13
	v_cmp_ne_u32_e32 vcc, v12, v5
	v_cndmask_b32_e64 v5, 0, 1, vcc
	v_add_u32_e32 v10, 0xfffffc10, v10
	v_or_b32_e32 v5, v13, v5
	v_lshl_or_b32 v12, v10, 12, v9
	v_cmp_gt_i32_e32 vcc, 1, v10
	v_cndmask_b32_e32 v5, v12, v5, vcc
	v_and_b32_e32 v12, 7, v5
	v_cmp_lt_i32_e32 vcc, 5, v12
	v_cmp_eq_u32_e64 s[0:1], 3, v12
	v_lshrrev_b32_e32 v5, 2, v5
	s_or_b64 vcc, s[0:1], vcc
	v_addc_co_u32_e32 v12, vcc, 0, v5, vcc
	ds_read2_b32 v[4:5], v4 offset0:168 offset1:253
	v_cmp_gt_i32_e32 vcc, 31, v10
	v_cndmask_b32_e32 v12, v3, v12, vcc
	v_cmp_ne_u32_e32 vcc, 0, v9
	v_cndmask_b32_e64 v9, 0, 1, vcc
	s_waitcnt lgkmcnt(0)
	v_lshrrev_b32_e32 v13, 16, v4
	v_mul_f16_sdwa v14, v56, v13 dst_sel:DWORD dst_unused:UNUSED_PAD src0_sel:WORD_1 src1_sel:DWORD
	v_fma_f16 v14, v56, v4, v14
	v_cvt_f32_f16_e32 v14, v14
	v_lshl_or_b32 v9, v9, 9, v3
	v_cmp_eq_u32_e32 vcc, s10, v10
	v_cndmask_b32_e32 v12, v12, v9, vcc
	v_cvt_f64_f32_e32 v[9:10], v14
	v_lshrrev_b32_e32 v6, 16, v6
	v_and_or_b32 v6, v6, s11, v12
	v_and_b32_e32 v11, 0xffff, v11
	v_mul_f64 v[9:10], v[9:10], s[2:3]
	v_lshl_or_b32 v11, v6, 16, v11
	v_mov_b32_e32 v12, s6
	v_add_co_u32_e32 v6, vcc, s7, v7
	v_addc_co_u32_e32 v7, vcc, v8, v12, vcc
	global_store_dword v[6:7], v11, off
	v_and_or_b32 v8, v10, s4, v9
	v_cmp_ne_u32_e32 vcc, 0, v8
	v_cndmask_b32_e64 v8, 0, 1, vcc
	v_lshrrev_b32_e32 v9, 8, v10
	v_and_or_b32 v11, v9, s5, v8
	v_bfe_u32 v9, v10, 20, 11
	v_sub_u32_e32 v12, 0x3f1, v9
	v_or_b32_e32 v8, 0x1000, v11
	v_med3_i32 v12, v12, 0, 13
	v_lshrrev_b32_e32 v14, v12, v8
	v_lshlrev_b32_e32 v12, v12, v14
	v_mul_f16_sdwa v4, v56, v4 dst_sel:DWORD dst_unused:UNUSED_PAD src0_sel:WORD_1 src1_sel:DWORD
	v_cmp_ne_u32_e32 vcc, v12, v8
	v_fma_f16 v4, v56, v13, -v4
	v_cndmask_b32_e64 v8, 0, 1, vcc
	v_add_u32_e32 v12, 0xfffffc10, v9
	v_cvt_f32_f16_e32 v4, v4
	v_or_b32_e32 v8, v14, v8
	v_lshl_or_b32 v9, v12, 12, v11
	v_cmp_gt_i32_e32 vcc, 1, v12
	v_cndmask_b32_e32 v8, v9, v8, vcc
	v_and_b32_e32 v9, 7, v8
	v_cmp_lt_i32_e32 vcc, 5, v9
	v_cmp_eq_u32_e64 s[0:1], 3, v9
	v_lshrrev_b32_e32 v13, 2, v8
	v_cvt_f64_f32_e32 v[8:9], v4
	s_or_b64 vcc, s[0:1], vcc
	v_addc_co_u32_e32 v4, vcc, 0, v13, vcc
	v_mul_f64 v[8:9], v[8:9], s[2:3]
	v_cmp_gt_i32_e32 vcc, 31, v12
	v_cndmask_b32_e32 v4, v3, v4, vcc
	v_cmp_ne_u32_e32 vcc, 0, v11
	v_cndmask_b32_e64 v11, 0, 1, vcc
	v_lshl_or_b32 v11, v11, 9, v3
	v_cmp_eq_u32_e32 vcc, s10, v12
	v_cndmask_b32_e32 v4, v4, v11, vcc
	v_and_or_b32 v8, v9, s4, v8
	v_lshrrev_b32_e32 v10, 16, v10
	v_cmp_ne_u32_e32 vcc, 0, v8
	v_and_or_b32 v4, v10, s11, v4
	v_cndmask_b32_e64 v8, 0, 1, vcc
	v_lshrrev_b32_e32 v10, 8, v9
	v_bfe_u32 v11, v9, 20, 11
	v_and_or_b32 v8, v10, s5, v8
	v_sub_u32_e32 v12, 0x3f1, v11
	v_or_b32_e32 v10, 0x1000, v8
	v_med3_i32 v12, v12, 0, 13
	v_lshrrev_b32_e32 v13, v12, v10
	v_lshlrev_b32_e32 v12, v12, v13
	v_cmp_ne_u32_e32 vcc, v12, v10
	v_cndmask_b32_e64 v10, 0, 1, vcc
	v_add_u32_e32 v11, 0xfffffc10, v11
	v_or_b32_e32 v10, v13, v10
	v_lshl_or_b32 v12, v11, 12, v8
	v_cmp_gt_i32_e32 vcc, 1, v11
	v_cndmask_b32_e32 v10, v12, v10, vcc
	v_and_b32_e32 v12, 7, v10
	v_cmp_lt_i32_e32 vcc, 5, v12
	v_cmp_eq_u32_e64 s[0:1], 3, v12
	v_lshrrev_b32_e32 v12, 16, v5
	v_lshrrev_b32_e32 v10, 2, v10
	s_or_b64 vcc, s[0:1], vcc
	v_mul_f16_sdwa v13, v55, v12 dst_sel:DWORD dst_unused:UNUSED_PAD src0_sel:WORD_1 src1_sel:DWORD
	v_addc_co_u32_e32 v10, vcc, 0, v10, vcc
	v_fma_f16 v13, v55, v5, v13
	v_cmp_gt_i32_e32 vcc, 31, v11
	v_cvt_f32_f16_e32 v13, v13
	v_cndmask_b32_e32 v10, v3, v10, vcc
	v_cmp_ne_u32_e32 vcc, 0, v8
	v_cndmask_b32_e64 v8, 0, 1, vcc
	v_lshl_or_b32 v8, v8, 9, v3
	v_cmp_eq_u32_e32 vcc, s10, v11
	v_cndmask_b32_e32 v8, v10, v8, vcc
	v_cvt_f64_f32_e32 v[10:11], v13
	v_lshrrev_b32_e32 v9, 16, v9
	v_and_or_b32 v13, v9, s11, v8
	v_and_b32_e32 v4, 0xffff, v4
	v_mul_f64 v[8:9], v[10:11], s[2:3]
	v_mov_b32_e32 v10, s6
	v_add_co_u32_e32 v6, vcc, s7, v6
	v_lshl_or_b32 v4, v13, 16, v4
	v_addc_co_u32_e32 v7, vcc, v7, v10, vcc
	global_store_dword v[6:7], v4, off
	v_and_or_b32 v4, v9, s4, v8
	v_cmp_ne_u32_e32 vcc, 0, v4
	v_cndmask_b32_e64 v4, 0, 1, vcc
	v_lshrrev_b32_e32 v8, 8, v9
	v_bfe_u32 v10, v9, 20, 11
	v_and_or_b32 v8, v8, s5, v4
	v_sub_u32_e32 v11, 0x3f1, v10
	v_or_b32_e32 v4, 0x1000, v8
	v_med3_i32 v11, v11, 0, 13
	v_lshrrev_b32_e32 v13, v11, v4
	v_lshlrev_b32_e32 v11, v11, v13
	v_mul_f16_sdwa v5, v55, v5 dst_sel:DWORD dst_unused:UNUSED_PAD src0_sel:WORD_1 src1_sel:DWORD
	v_cmp_ne_u32_e32 vcc, v11, v4
	v_fma_f16 v5, v55, v12, -v5
	v_cndmask_b32_e64 v4, 0, 1, vcc
	v_add_u32_e32 v10, 0xfffffc10, v10
	v_cvt_f32_f16_e32 v5, v5
	v_or_b32_e32 v4, v13, v4
	v_lshl_or_b32 v11, v10, 12, v8
	v_cmp_gt_i32_e32 vcc, 1, v10
	v_cndmask_b32_e32 v4, v11, v4, vcc
	v_and_b32_e32 v11, 7, v4
	v_cmp_lt_i32_e32 vcc, 5, v11
	v_cmp_eq_u32_e64 s[0:1], 3, v11
	v_lshrrev_b32_e32 v11, 2, v4
	v_cvt_f64_f32_e32 v[4:5], v5
	s_or_b64 vcc, s[0:1], vcc
	v_addc_co_u32_e32 v11, vcc, 0, v11, vcc
	v_mul_f64 v[4:5], v[4:5], s[2:3]
	v_cmp_gt_i32_e32 vcc, 31, v10
	v_cndmask_b32_e32 v11, v3, v11, vcc
	v_cmp_ne_u32_e32 vcc, 0, v8
	v_cndmask_b32_e64 v8, 0, 1, vcc
	v_lshl_or_b32 v8, v8, 9, v3
	v_cmp_eq_u32_e32 vcc, s10, v10
	v_cndmask_b32_e32 v8, v11, v8, vcc
	v_and_or_b32 v4, v5, s4, v4
	v_lshrrev_b32_e32 v9, 16, v9
	v_cmp_ne_u32_e32 vcc, 0, v4
	v_and_or_b32 v12, v9, s11, v8
	v_cndmask_b32_e64 v4, 0, 1, vcc
	v_lshrrev_b32_e32 v8, 8, v5
	v_bfe_u32 v9, v5, 20, 11
	v_and_or_b32 v4, v8, s5, v4
	v_sub_u32_e32 v10, 0x3f1, v9
	v_or_b32_e32 v8, 0x1000, v4
	v_med3_i32 v10, v10, 0, 13
	v_lshrrev_b32_e32 v11, v10, v8
	v_lshlrev_b32_e32 v10, v10, v11
	v_cmp_ne_u32_e32 vcc, v10, v8
	v_cndmask_b32_e64 v8, 0, 1, vcc
	v_add_u32_e32 v10, 0xfffffc10, v9
	v_or_b32_e32 v8, v11, v8
	v_lshl_or_b32 v9, v10, 12, v4
	v_cmp_gt_i32_e32 vcc, 1, v10
	v_cndmask_b32_e32 v8, v9, v8, vcc
	v_and_b32_e32 v9, 7, v8
	v_cmp_lt_i32_e32 vcc, 5, v9
	v_cmp_eq_u32_e64 s[0:1], 3, v9
	v_lshrrev_b32_e32 v8, 2, v8
	s_or_b64 vcc, s[0:1], vcc
	v_addc_co_u32_e32 v11, vcc, 0, v8, vcc
	ds_read2_b32 v[8:9], v2 offset0:82 offset1:167
	v_cmp_gt_i32_e32 vcc, 31, v10
	v_cndmask_b32_e32 v2, v3, v11, vcc
	v_cmp_ne_u32_e32 vcc, 0, v4
	v_cndmask_b32_e64 v4, 0, 1, vcc
	s_waitcnt lgkmcnt(0)
	v_lshrrev_b32_e32 v13, 16, v8
	v_mul_f16_sdwa v11, v54, v13 dst_sel:DWORD dst_unused:UNUSED_PAD src0_sel:WORD_1 src1_sel:DWORD
	v_fma_f16 v11, v54, v8, v11
	v_cvt_f32_f16_e32 v11, v11
	v_cmp_eq_u32_e32 vcc, s10, v10
	v_lshl_or_b32 v4, v4, 9, v3
	v_cndmask_b32_e32 v2, v2, v4, vcc
	v_cvt_f64_f32_e32 v[10:11], v11
	v_lshrrev_b32_e32 v4, 16, v5
	v_and_or_b32 v2, v4, s11, v2
	v_and_b32_e32 v12, 0xffff, v12
	v_mul_f64 v[4:5], v[10:11], s[2:3]
	v_mov_b32_e32 v10, s6
	v_add_co_u32_e32 v6, vcc, s7, v6
	v_lshl_or_b32 v2, v2, 16, v12
	v_addc_co_u32_e32 v7, vcc, v7, v10, vcc
	global_store_dword v[6:7], v2, off
	v_and_or_b32 v2, v5, s4, v4
	v_cmp_ne_u32_e32 vcc, 0, v2
	v_cndmask_b32_e64 v2, 0, 1, vcc
	v_lshrrev_b32_e32 v4, 8, v5
	v_bfe_u32 v10, v5, 20, 11
	v_and_or_b32 v2, v4, s5, v2
	v_sub_u32_e32 v11, 0x3f1, v10
	v_or_b32_e32 v4, 0x1000, v2
	v_med3_i32 v11, v11, 0, 13
	v_lshrrev_b32_e32 v12, v11, v4
	v_lshlrev_b32_e32 v11, v11, v12
	v_cmp_ne_u32_e32 vcc, v11, v4
	v_mul_f16_sdwa v8, v54, v8 dst_sel:DWORD dst_unused:UNUSED_PAD src0_sel:WORD_1 src1_sel:DWORD
	v_cndmask_b32_e64 v4, 0, 1, vcc
	v_fma_f16 v8, v54, v13, -v8
	v_or_b32_e32 v4, v12, v4
	v_add_u32_e32 v12, 0xfffffc10, v10
	v_cvt_f32_f16_e32 v8, v8
	v_lshl_or_b32 v10, v12, 12, v2
	v_cmp_gt_i32_e32 vcc, 1, v12
	v_cndmask_b32_e32 v4, v10, v4, vcc
	v_and_b32_e32 v10, 7, v4
	v_cmp_lt_i32_e32 vcc, 5, v10
	v_cmp_eq_u32_e64 s[0:1], 3, v10
	v_cvt_f64_f32_e32 v[10:11], v8
	v_lshrrev_b32_e32 v4, 2, v4
	s_or_b64 vcc, s[0:1], vcc
	v_addc_co_u32_e32 v4, vcc, 0, v4, vcc
	v_mul_f64 v[10:11], v[10:11], s[2:3]
	v_cmp_gt_i32_e32 vcc, 31, v12
	v_cndmask_b32_e32 v4, v3, v4, vcc
	v_cmp_ne_u32_e32 vcc, 0, v2
	v_cndmask_b32_e64 v2, 0, 1, vcc
	v_lshl_or_b32 v2, v2, 9, v3
	v_cmp_eq_u32_e32 vcc, s10, v12
	v_cndmask_b32_e32 v2, v4, v2, vcc
	v_lshrrev_b32_e32 v4, 16, v5
	v_and_or_b32 v2, v4, s11, v2
	v_and_or_b32 v4, v11, s4, v10
	v_cmp_ne_u32_e32 vcc, 0, v4
	v_cndmask_b32_e64 v4, 0, 1, vcc
	v_lshrrev_b32_e32 v5, 8, v11
	v_bfe_u32 v8, v11, 20, 11
	v_and_or_b32 v4, v5, s5, v4
	v_sub_u32_e32 v10, 0x3f1, v8
	v_or_b32_e32 v5, 0x1000, v4
	v_med3_i32 v10, v10, 0, 13
	v_lshrrev_b32_e32 v12, v10, v5
	v_lshlrev_b32_e32 v10, v10, v12
	v_cmp_ne_u32_e32 vcc, v10, v5
	v_cndmask_b32_e64 v5, 0, 1, vcc
	v_add_u32_e32 v8, 0xfffffc10, v8
	v_or_b32_e32 v5, v12, v5
	v_lshl_or_b32 v10, v8, 12, v4
	v_cmp_gt_i32_e32 vcc, 1, v8
	v_cndmask_b32_e32 v5, v10, v5, vcc
	v_and_b32_e32 v10, 7, v5
	v_cmp_lt_i32_e32 vcc, 5, v10
	v_cmp_eq_u32_e64 s[0:1], 3, v10
	v_lshrrev_b32_e32 v10, 16, v9
	v_lshrrev_b32_e32 v5, 2, v5
	s_or_b64 vcc, s[0:1], vcc
	v_mul_f16_sdwa v12, v53, v10 dst_sel:DWORD dst_unused:UNUSED_PAD src0_sel:WORD_1 src1_sel:DWORD
	v_addc_co_u32_e32 v5, vcc, 0, v5, vcc
	v_fma_f16 v12, v53, v9, v12
	v_cmp_gt_i32_e32 vcc, 31, v8
	v_cvt_f32_f16_e32 v12, v12
	v_cndmask_b32_e32 v5, v3, v5, vcc
	v_cmp_ne_u32_e32 vcc, 0, v4
	v_cndmask_b32_e64 v4, 0, 1, vcc
	v_lshl_or_b32 v4, v4, 9, v3
	v_cmp_eq_u32_e32 vcc, s10, v8
	v_cndmask_b32_e32 v8, v5, v4, vcc
	v_cvt_f64_f32_e32 v[4:5], v12
	v_lshrrev_b32_e32 v11, 16, v11
	v_and_or_b32 v8, v11, s11, v8
	v_and_b32_e32 v2, 0xffff, v2
	v_mul_f64 v[4:5], v[4:5], s[2:3]
	v_lshl_or_b32 v2, v8, 16, v2
	v_mov_b32_e32 v8, s6
	v_add_co_u32_e32 v6, vcc, s7, v6
	v_addc_co_u32_e32 v7, vcc, v7, v8, vcc
	global_store_dword v[6:7], v2, off
	v_and_or_b32 v2, v5, s4, v4
	v_cmp_ne_u32_e32 vcc, 0, v2
	v_cndmask_b32_e64 v2, 0, 1, vcc
	v_lshrrev_b32_e32 v4, 8, v5
	v_bfe_u32 v8, v5, 20, 11
	v_and_or_b32 v2, v4, s5, v2
	v_sub_u32_e32 v11, 0x3f1, v8
	v_or_b32_e32 v4, 0x1000, v2
	v_med3_i32 v11, v11, 0, 13
	v_lshrrev_b32_e32 v12, v11, v4
	v_lshlrev_b32_e32 v11, v11, v12
	v_mul_f16_sdwa v9, v53, v9 dst_sel:DWORD dst_unused:UNUSED_PAD src0_sel:WORD_1 src1_sel:DWORD
	v_cmp_ne_u32_e32 vcc, v11, v4
	v_fma_f16 v9, v53, v10, -v9
	v_cndmask_b32_e64 v4, 0, 1, vcc
	v_add_u32_e32 v11, 0xfffffc10, v8
	v_cvt_f32_f16_e32 v9, v9
	v_or_b32_e32 v4, v12, v4
	v_lshl_or_b32 v8, v11, 12, v2
	v_cmp_gt_i32_e32 vcc, 1, v11
	v_cndmask_b32_e32 v4, v8, v4, vcc
	v_and_b32_e32 v8, 7, v4
	v_cmp_lt_i32_e32 vcc, 5, v8
	v_cmp_eq_u32_e64 s[0:1], 3, v8
	v_cvt_f64_f32_e32 v[8:9], v9
	v_lshrrev_b32_e32 v4, 2, v4
	s_or_b64 vcc, s[0:1], vcc
	v_addc_co_u32_e32 v4, vcc, 0, v4, vcc
	v_mul_f64 v[8:9], v[8:9], s[2:3]
	v_cmp_gt_i32_e32 vcc, 31, v11
	v_cndmask_b32_e32 v4, v3, v4, vcc
	v_cmp_ne_u32_e32 vcc, 0, v2
	v_cndmask_b32_e64 v2, 0, 1, vcc
	v_lshl_or_b32 v2, v2, 9, v3
	v_cmp_eq_u32_e32 vcc, s10, v11
	v_cndmask_b32_e32 v2, v4, v2, vcc
	v_lshrrev_b32_e32 v4, 16, v5
	v_and_or_b32 v10, v4, s11, v2
	v_and_or_b32 v2, v9, s4, v8
	v_cmp_ne_u32_e32 vcc, 0, v2
	v_cndmask_b32_e64 v2, 0, 1, vcc
	v_lshrrev_b32_e32 v4, 8, v9
	v_bfe_u32 v5, v9, 20, 11
	v_and_or_b32 v4, v4, s5, v2
	v_sub_u32_e32 v8, 0x3f1, v5
	v_or_b32_e32 v2, 0x1000, v4
	v_med3_i32 v8, v8, 0, 13
	v_lshrrev_b32_e32 v11, v8, v2
	v_lshlrev_b32_e32 v8, v8, v11
	v_cmp_ne_u32_e32 vcc, v8, v2
	v_cndmask_b32_e64 v2, 0, 1, vcc
	v_add_u32_e32 v5, 0xfffffc10, v5
	v_or_b32_e32 v2, v11, v2
	v_lshl_or_b32 v8, v5, 12, v4
	v_cmp_gt_i32_e32 vcc, 1, v5
	v_cndmask_b32_e32 v2, v8, v2, vcc
	v_and_b32_e32 v8, 7, v2
	v_cmp_lt_i32_e32 vcc, 5, v8
	v_cmp_eq_u32_e64 s[0:1], 3, v8
	v_lshrrev_b32_e32 v2, 2, v2
	s_or_b64 vcc, s[0:1], vcc
	v_addc_co_u32_e32 v8, vcc, 0, v2, vcc
	ds_read2_b32 v[1:2], v1 offset0:124 offset1:209
	v_cmp_gt_i32_e32 vcc, 31, v5
	v_cndmask_b32_e32 v8, v3, v8, vcc
	v_cmp_ne_u32_e32 vcc, 0, v4
	v_cndmask_b32_e64 v4, 0, 1, vcc
	s_waitcnt lgkmcnt(0)
	v_lshrrev_b32_e32 v11, 16, v1
	v_mul_f16_sdwa v12, v52, v11 dst_sel:DWORD dst_unused:UNUSED_PAD src0_sel:WORD_1 src1_sel:DWORD
	v_fma_f16 v12, v52, v1, v12
	v_cvt_f32_f16_e32 v12, v12
	v_lshl_or_b32 v4, v4, 9, v3
	v_cmp_eq_u32_e32 vcc, s10, v5
	v_cndmask_b32_e32 v8, v8, v4, vcc
	v_cvt_f64_f32_e32 v[4:5], v12
	v_lshrrev_b32_e32 v9, 16, v9
	v_and_or_b32 v8, v9, s11, v8
	v_and_b32_e32 v9, 0xffff, v10
	v_mul_f64 v[4:5], v[4:5], s[2:3]
	v_lshl_or_b32 v8, v8, 16, v9
	v_mov_b32_e32 v9, s6
	v_add_co_u32_e32 v6, vcc, s7, v6
	v_addc_co_u32_e32 v7, vcc, v7, v9, vcc
	global_store_dword v[6:7], v8, off
	v_and_or_b32 v4, v5, s4, v4
	v_cmp_ne_u32_e32 vcc, 0, v4
	v_cndmask_b32_e64 v4, 0, 1, vcc
	v_lshrrev_b32_e32 v8, 8, v5
	v_bfe_u32 v9, v5, 20, 11
	v_and_or_b32 v4, v8, s5, v4
	v_sub_u32_e32 v10, 0x3f1, v9
	v_or_b32_e32 v8, 0x1000, v4
	v_med3_i32 v10, v10, 0, 13
	v_lshrrev_b32_e32 v12, v10, v8
	v_lshlrev_b32_e32 v10, v10, v12
	v_mul_f16_sdwa v1, v52, v1 dst_sel:DWORD dst_unused:UNUSED_PAD src0_sel:WORD_1 src1_sel:DWORD
	v_cmp_ne_u32_e32 vcc, v10, v8
	v_fma_f16 v1, v52, v11, -v1
	v_cndmask_b32_e64 v8, 0, 1, vcc
	v_add_u32_e32 v10, 0xfffffc10, v9
	v_cvt_f32_f16_e32 v1, v1
	v_or_b32_e32 v8, v12, v8
	v_lshl_or_b32 v9, v10, 12, v4
	v_cmp_gt_i32_e32 vcc, 1, v10
	v_cndmask_b32_e32 v8, v9, v8, vcc
	v_and_b32_e32 v9, 7, v8
	v_cmp_lt_i32_e32 vcc, 5, v9
	v_cmp_eq_u32_e64 s[0:1], 3, v9
	v_lshrrev_b32_e32 v11, 2, v8
	v_cvt_f64_f32_e32 v[8:9], v1
	s_or_b64 vcc, s[0:1], vcc
	v_addc_co_u32_e32 v1, vcc, 0, v11, vcc
	v_mul_f64 v[8:9], v[8:9], s[2:3]
	v_cmp_gt_i32_e32 vcc, 31, v10
	v_cndmask_b32_e32 v1, v3, v1, vcc
	v_cmp_ne_u32_e32 vcc, 0, v4
	v_cndmask_b32_e64 v4, 0, 1, vcc
	v_lshl_or_b32 v4, v4, 9, v3
	v_cmp_eq_u32_e32 vcc, s10, v10
	v_cndmask_b32_e32 v1, v1, v4, vcc
	v_lshrrev_b32_e32 v4, 16, v5
	v_and_or_b32 v1, v4, s11, v1
	v_and_or_b32 v4, v9, s4, v8
	v_cmp_ne_u32_e32 vcc, 0, v4
	v_cndmask_b32_e64 v4, 0, 1, vcc
	v_lshrrev_b32_e32 v5, 8, v9
	v_bfe_u32 v8, v9, 20, 11
	v_and_or_b32 v4, v5, s5, v4
	v_sub_u32_e32 v10, 0x3f1, v8
	v_or_b32_e32 v5, 0x1000, v4
	v_med3_i32 v10, v10, 0, 13
	v_lshrrev_b32_e32 v11, v10, v5
	v_lshlrev_b32_e32 v10, v10, v11
	v_cmp_ne_u32_e32 vcc, v10, v5
	v_cndmask_b32_e64 v5, 0, 1, vcc
	v_add_u32_e32 v8, 0xfffffc10, v8
	v_or_b32_e32 v5, v11, v5
	v_lshl_or_b32 v10, v8, 12, v4
	v_cmp_gt_i32_e32 vcc, 1, v8
	v_cndmask_b32_e32 v5, v10, v5, vcc
	v_and_b32_e32 v10, 7, v5
	v_cmp_lt_i32_e32 vcc, 5, v10
	v_cmp_eq_u32_e64 s[0:1], 3, v10
	v_lshrrev_b32_e32 v10, 16, v2
	v_lshrrev_b32_e32 v5, 2, v5
	s_or_b64 vcc, s[0:1], vcc
	v_mul_f16_sdwa v11, v51, v10 dst_sel:DWORD dst_unused:UNUSED_PAD src0_sel:WORD_1 src1_sel:DWORD
	v_addc_co_u32_e32 v5, vcc, 0, v5, vcc
	v_fma_f16 v11, v51, v2, v11
	v_cmp_gt_i32_e32 vcc, 31, v8
	v_cvt_f32_f16_e32 v11, v11
	v_cndmask_b32_e32 v5, v3, v5, vcc
	v_cmp_ne_u32_e32 vcc, 0, v4
	v_cndmask_b32_e64 v4, 0, 1, vcc
	v_lshl_or_b32 v4, v4, 9, v3
	v_cmp_eq_u32_e32 vcc, s10, v8
	v_cndmask_b32_e32 v8, v5, v4, vcc
	v_cvt_f64_f32_e32 v[4:5], v11
	v_lshrrev_b32_e32 v9, 16, v9
	v_and_or_b32 v8, v9, s11, v8
	v_and_b32_e32 v1, 0xffff, v1
	v_mul_f64 v[4:5], v[4:5], s[2:3]
	v_lshl_or_b32 v1, v8, 16, v1
	v_mov_b32_e32 v8, s6
	v_add_co_u32_e32 v6, vcc, s7, v6
	v_addc_co_u32_e32 v7, vcc, v7, v8, vcc
	global_store_dword v[6:7], v1, off
	v_and_or_b32 v1, v5, s4, v4
	v_cmp_ne_u32_e32 vcc, 0, v1
	v_cndmask_b32_e64 v1, 0, 1, vcc
	v_lshrrev_b32_e32 v4, 8, v5
	v_bfe_u32 v8, v5, 20, 11
	v_and_or_b32 v4, v4, s5, v1
	v_sub_u32_e32 v9, 0x3f1, v8
	v_or_b32_e32 v1, 0x1000, v4
	v_med3_i32 v9, v9, 0, 13
	v_lshrrev_b32_e32 v11, v9, v1
	v_lshlrev_b32_e32 v9, v9, v11
	v_mul_f16_sdwa v2, v51, v2 dst_sel:DWORD dst_unused:UNUSED_PAD src0_sel:WORD_1 src1_sel:DWORD
	v_cmp_ne_u32_e32 vcc, v9, v1
	v_fma_f16 v2, v51, v10, -v2
	v_cndmask_b32_e64 v1, 0, 1, vcc
	v_add_u32_e32 v8, 0xfffffc10, v8
	v_cvt_f32_f16_e32 v2, v2
	v_or_b32_e32 v1, v11, v1
	v_lshl_or_b32 v9, v8, 12, v4
	v_cmp_gt_i32_e32 vcc, 1, v8
	v_cndmask_b32_e32 v1, v9, v1, vcc
	v_and_b32_e32 v9, 7, v1
	v_cmp_lt_i32_e32 vcc, 5, v9
	v_cmp_eq_u32_e64 s[0:1], 3, v9
	v_lshrrev_b32_e32 v9, 2, v1
	v_cvt_f64_f32_e32 v[1:2], v2
	s_or_b64 vcc, s[0:1], vcc
	v_addc_co_u32_e32 v9, vcc, 0, v9, vcc
	v_mul_f64 v[1:2], v[1:2], s[2:3]
	v_cmp_gt_i32_e32 vcc, 31, v8
	v_cndmask_b32_e32 v9, v3, v9, vcc
	v_cmp_ne_u32_e32 vcc, 0, v4
	v_cndmask_b32_e64 v4, 0, 1, vcc
	v_lshl_or_b32 v4, v4, 9, v3
	v_cmp_eq_u32_e32 vcc, s10, v8
	v_cndmask_b32_e32 v4, v9, v4, vcc
	v_and_or_b32 v1, v2, s4, v1
	v_lshrrev_b32_e32 v5, 16, v5
	v_cmp_ne_u32_e32 vcc, 0, v1
	v_and_or_b32 v8, v5, s11, v4
	v_cndmask_b32_e64 v1, 0, 1, vcc
	v_lshrrev_b32_e32 v4, 8, v2
	v_bfe_u32 v5, v2, 20, 11
	v_and_or_b32 v4, v4, s5, v1
	v_sub_u32_e32 v9, 0x3f1, v5
	v_or_b32_e32 v1, 0x1000, v4
	v_med3_i32 v9, v9, 0, 13
	v_lshrrev_b32_e32 v10, v9, v1
	v_lshlrev_b32_e32 v9, v9, v10
	v_cmp_ne_u32_e32 vcc, v9, v1
	v_cndmask_b32_e64 v1, 0, 1, vcc
	v_add_u32_e32 v5, 0xfffffc10, v5
	v_or_b32_e32 v1, v10, v1
	v_lshl_or_b32 v9, v5, 12, v4
	v_cmp_gt_i32_e32 vcc, 1, v5
	v_cndmask_b32_e32 v1, v9, v1, vcc
	v_and_b32_e32 v9, 7, v1
	v_cmp_lt_i32_e32 vcc, 5, v9
	v_cmp_eq_u32_e64 s[0:1], 3, v9
	v_lshrrev_b32_e32 v1, 2, v1
	s_or_b64 vcc, s[0:1], vcc
	v_addc_co_u32_e32 v9, vcc, 0, v1, vcc
	ds_read2_b32 v[0:1], v0 offset0:166 offset1:251
	v_cmp_gt_i32_e32 vcc, 31, v5
	v_cndmask_b32_e32 v9, v3, v9, vcc
	v_cmp_ne_u32_e32 vcc, 0, v4
	v_cndmask_b32_e64 v4, 0, 1, vcc
	s_waitcnt lgkmcnt(0)
	v_lshrrev_b32_e32 v10, 16, v0
	v_mul_f16_sdwa v11, v50, v10 dst_sel:DWORD dst_unused:UNUSED_PAD src0_sel:WORD_1 src1_sel:DWORD
	v_fma_f16 v11, v50, v0, v11
	v_cvt_f32_f16_e32 v11, v11
	v_lshl_or_b32 v4, v4, 9, v3
	v_cmp_eq_u32_e32 vcc, s10, v5
	v_cndmask_b32_e32 v9, v9, v4, vcc
	v_cvt_f64_f32_e32 v[4:5], v11
	v_lshrrev_b32_e32 v2, 16, v2
	v_and_or_b32 v2, v2, s11, v9
	v_and_b32_e32 v8, 0xffff, v8
	v_mul_f64 v[4:5], v[4:5], s[2:3]
	v_lshl_or_b32 v2, v2, 16, v8
	v_mov_b32_e32 v8, s6
	v_add_co_u32_e32 v6, vcc, s7, v6
	v_addc_co_u32_e32 v7, vcc, v7, v8, vcc
	global_store_dword v[6:7], v2, off
	v_and_or_b32 v2, v5, s4, v4
	v_cmp_ne_u32_e32 vcc, 0, v2
	v_cndmask_b32_e64 v2, 0, 1, vcc
	v_lshrrev_b32_e32 v4, 8, v5
	v_bfe_u32 v8, v5, 20, 11
	v_and_or_b32 v2, v4, s5, v2
	v_sub_u32_e32 v9, 0x3f1, v8
	v_or_b32_e32 v4, 0x1000, v2
	v_med3_i32 v9, v9, 0, 13
	v_lshrrev_b32_e32 v11, v9, v4
	v_lshlrev_b32_e32 v9, v9, v11
	v_cmp_ne_u32_e32 vcc, v9, v4
	v_mul_f16_sdwa v0, v50, v0 dst_sel:DWORD dst_unused:UNUSED_PAD src0_sel:WORD_1 src1_sel:DWORD
	v_cndmask_b32_e64 v4, 0, 1, vcc
	v_fma_f16 v0, v50, v10, -v0
	v_or_b32_e32 v4, v11, v4
	v_add_u32_e32 v11, 0xfffffc10, v8
	v_cvt_f32_f16_e32 v0, v0
	v_lshl_or_b32 v8, v11, 12, v2
	v_cmp_gt_i32_e32 vcc, 1, v11
	v_cndmask_b32_e32 v4, v8, v4, vcc
	v_and_b32_e32 v8, 7, v4
	v_cmp_lt_i32_e32 vcc, 5, v8
	v_cmp_eq_u32_e64 s[0:1], 3, v8
	v_cvt_f64_f32_e32 v[8:9], v0
	v_lshrrev_b32_e32 v4, 2, v4
	s_or_b64 vcc, s[0:1], vcc
	v_addc_co_u32_e32 v0, vcc, 0, v4, vcc
	v_mul_f64 v[8:9], v[8:9], s[2:3]
	v_cmp_gt_i32_e32 vcc, 31, v11
	v_cndmask_b32_e32 v0, v3, v0, vcc
	v_cmp_ne_u32_e32 vcc, 0, v2
	v_cndmask_b32_e64 v2, 0, 1, vcc
	v_lshl_or_b32 v2, v2, 9, v3
	v_cmp_eq_u32_e32 vcc, s10, v11
	v_cndmask_b32_e32 v0, v0, v2, vcc
	v_lshrrev_b32_e32 v2, 16, v5
	v_and_or_b32 v0, v2, s11, v0
	v_and_or_b32 v2, v9, s4, v8
	v_cmp_ne_u32_e32 vcc, 0, v2
	v_cndmask_b32_e64 v2, 0, 1, vcc
	v_lshrrev_b32_e32 v4, 8, v9
	v_bfe_u32 v5, v9, 20, 11
	v_and_or_b32 v2, v4, s5, v2
	v_sub_u32_e32 v8, 0x3f1, v5
	v_or_b32_e32 v4, 0x1000, v2
	v_med3_i32 v8, v8, 0, 13
	v_lshrrev_b32_e32 v10, v8, v4
	v_lshlrev_b32_e32 v8, v8, v10
	v_cmp_ne_u32_e32 vcc, v8, v4
	v_cndmask_b32_e64 v4, 0, 1, vcc
	v_add_u32_e32 v5, 0xfffffc10, v5
	v_or_b32_e32 v4, v10, v4
	v_lshl_or_b32 v8, v5, 12, v2
	v_cmp_gt_i32_e32 vcc, 1, v5
	v_cndmask_b32_e32 v4, v8, v4, vcc
	v_and_b32_e32 v8, 7, v4
	v_cmp_lt_i32_e32 vcc, 5, v8
	v_cmp_eq_u32_e64 s[0:1], 3, v8
	v_lshrrev_b32_e32 v8, 16, v1
	v_lshrrev_b32_e32 v4, 2, v4
	s_or_b64 vcc, s[0:1], vcc
	v_mul_f16_sdwa v10, v49, v8 dst_sel:DWORD dst_unused:UNUSED_PAD src0_sel:WORD_1 src1_sel:DWORD
	v_addc_co_u32_e32 v4, vcc, 0, v4, vcc
	v_fma_f16 v10, v49, v1, v10
	v_cmp_gt_i32_e32 vcc, 31, v5
	v_cvt_f32_f16_e32 v10, v10
	v_cndmask_b32_e32 v4, v3, v4, vcc
	v_cmp_ne_u32_e32 vcc, 0, v2
	v_cndmask_b32_e64 v2, 0, 1, vcc
	v_lshl_or_b32 v2, v2, 9, v3
	v_cmp_eq_u32_e32 vcc, s10, v5
	v_cndmask_b32_e32 v2, v4, v2, vcc
	v_cvt_f64_f32_e32 v[4:5], v10
	v_lshrrev_b32_e32 v9, 16, v9
	v_and_or_b32 v2, v9, s11, v2
	v_and_b32_e32 v0, 0xffff, v0
	v_mul_f64 v[4:5], v[4:5], s[2:3]
	v_lshl_or_b32 v0, v2, 16, v0
	v_mov_b32_e32 v2, s6
	v_add_co_u32_e32 v6, vcc, s7, v6
	v_addc_co_u32_e32 v7, vcc, v7, v2, vcc
	global_store_dword v[6:7], v0, off
	v_and_or_b32 v0, v5, s4, v4
	v_cmp_ne_u32_e32 vcc, 0, v0
	v_cndmask_b32_e64 v0, 0, 1, vcc
	v_lshrrev_b32_e32 v2, 8, v5
	v_bfe_u32 v4, v5, 20, 11
	v_and_or_b32 v2, v2, s5, v0
	v_sub_u32_e32 v9, 0x3f1, v4
	v_or_b32_e32 v0, 0x1000, v2
	v_med3_i32 v9, v9, 0, 13
	v_lshrrev_b32_e32 v10, v9, v0
	v_mul_f16_sdwa v1, v49, v1 dst_sel:DWORD dst_unused:UNUSED_PAD src0_sel:WORD_1 src1_sel:DWORD
	v_lshlrev_b32_e32 v9, v9, v10
	v_fma_f16 v1, v49, v8, -v1
	v_cmp_ne_u32_e32 vcc, v9, v0
	v_cvt_f32_f16_e32 v1, v1
	v_cndmask_b32_e64 v0, 0, 1, vcc
	v_add_u32_e32 v4, 0xfffffc10, v4
	v_or_b32_e32 v0, v10, v0
	v_lshl_or_b32 v9, v4, 12, v2
	v_cmp_gt_i32_e32 vcc, 1, v4
	v_cndmask_b32_e32 v0, v9, v0, vcc
	v_and_b32_e32 v9, 7, v0
	v_lshrrev_b32_e32 v8, 2, v0
	v_cvt_f64_f32_e32 v[0:1], v1
	v_cmp_lt_i32_e32 vcc, 5, v9
	v_cmp_eq_u32_e64 s[0:1], 3, v9
	s_or_b64 vcc, s[0:1], vcc
	v_mul_f64 v[0:1], v[0:1], s[2:3]
	v_addc_co_u32_e32 v8, vcc, 0, v8, vcc
	v_cmp_gt_i32_e32 vcc, 31, v4
	v_cndmask_b32_e32 v8, v3, v8, vcc
	v_cmp_ne_u32_e32 vcc, 0, v2
	v_cndmask_b32_e64 v2, 0, 1, vcc
	v_lshl_or_b32 v2, v2, 9, v3
	v_cmp_eq_u32_e32 vcc, s10, v4
	v_and_or_b32 v0, v1, s4, v0
	v_cndmask_b32_e32 v2, v8, v2, vcc
	v_lshrrev_b32_e32 v4, 16, v5
	v_cmp_ne_u32_e32 vcc, 0, v0
	v_and_or_b32 v2, v4, s11, v2
	v_cndmask_b32_e64 v0, 0, 1, vcc
	v_lshrrev_b32_e32 v4, 8, v1
	v_bfe_u32 v5, v1, 20, 11
	v_and_or_b32 v0, v4, s5, v0
	v_sub_u32_e32 v8, 0x3f1, v5
	v_or_b32_e32 v4, 0x1000, v0
	v_med3_i32 v8, v8, 0, 13
	v_lshrrev_b32_e32 v9, v8, v4
	v_lshlrev_b32_e32 v8, v8, v9
	v_cmp_ne_u32_e32 vcc, v8, v4
	v_cndmask_b32_e64 v4, 0, 1, vcc
	v_add_u32_e32 v5, 0xfffffc10, v5
	v_or_b32_e32 v4, v9, v4
	v_lshl_or_b32 v8, v5, 12, v0
	v_cmp_gt_i32_e32 vcc, 1, v5
	v_cndmask_b32_e32 v4, v8, v4, vcc
	v_and_b32_e32 v8, 7, v4
	v_cmp_lt_i32_e32 vcc, 5, v8
	v_cmp_eq_u32_e64 s[0:1], 3, v8
	ds_read_b32 v8, v47 offset:5440
	v_lshrrev_b32_e32 v4, 2, v4
	s_or_b64 vcc, s[0:1], vcc
	v_addc_co_u32_e32 v4, vcc, 0, v4, vcc
	s_waitcnt lgkmcnt(0)
	v_lshrrev_b32_e32 v9, 16, v8
	v_mul_f16_sdwa v10, v48, v9 dst_sel:DWORD dst_unused:UNUSED_PAD src0_sel:WORD_1 src1_sel:DWORD
	v_fma_f16 v10, v48, v8, v10
	v_cmp_gt_i32_e32 vcc, 31, v5
	v_cvt_f32_f16_e32 v10, v10
	v_cndmask_b32_e32 v4, v3, v4, vcc
	v_cmp_ne_u32_e32 vcc, 0, v0
	v_cndmask_b32_e64 v0, 0, 1, vcc
	v_lshl_or_b32 v0, v0, 9, v3
	v_cmp_eq_u32_e32 vcc, s10, v5
	v_cndmask_b32_e32 v0, v4, v0, vcc
	v_cvt_f64_f32_e32 v[4:5], v10
	v_lshrrev_b32_e32 v1, 16, v1
	v_and_or_b32 v10, v1, s11, v0
	v_and_b32_e32 v2, 0xffff, v2
	v_mul_f64 v[0:1], v[4:5], s[2:3]
	v_mov_b32_e32 v5, s6
	v_add_co_u32_e32 v4, vcc, s7, v6
	v_addc_co_u32_e32 v5, vcc, v7, v5, vcc
	v_lshl_or_b32 v2, v10, 16, v2
	global_store_dword v[4:5], v2, off
	v_and_or_b32 v0, v1, s4, v0
	v_cmp_ne_u32_e32 vcc, 0, v0
	v_cndmask_b32_e64 v0, 0, 1, vcc
	v_lshrrev_b32_e32 v2, 8, v1
	v_bfe_u32 v6, v1, 20, 11
	v_and_or_b32 v0, v2, s5, v0
	v_sub_u32_e32 v7, 0x3f1, v6
	v_or_b32_e32 v2, 0x1000, v0
	v_med3_i32 v7, v7, 0, 13
	v_lshrrev_b32_e32 v10, v7, v2
	v_lshlrev_b32_e32 v7, v7, v10
	v_cmp_ne_u32_e32 vcc, v7, v2
	v_mul_f16_sdwa v7, v48, v8 dst_sel:DWORD dst_unused:UNUSED_PAD src0_sel:WORD_1 src1_sel:DWORD
	v_cndmask_b32_e64 v2, 0, 1, vcc
	v_fma_f16 v7, v48, v9, -v7
	v_or_b32_e32 v2, v10, v2
	v_add_u32_e32 v10, 0xfffffc10, v6
	v_cvt_f32_f16_e32 v7, v7
	v_lshl_or_b32 v6, v10, 12, v0
	v_cmp_gt_i32_e32 vcc, 1, v10
	v_cndmask_b32_e32 v2, v6, v2, vcc
	v_and_b32_e32 v6, 7, v2
	v_cmp_lt_i32_e32 vcc, 5, v6
	v_cmp_eq_u32_e64 s[0:1], 3, v6
	v_cvt_f64_f32_e32 v[6:7], v7
	v_lshrrev_b32_e32 v2, 2, v2
	s_or_b64 vcc, s[0:1], vcc
	v_addc_co_u32_e32 v2, vcc, 0, v2, vcc
	v_mul_f64 v[6:7], v[6:7], s[2:3]
	v_cmp_gt_i32_e32 vcc, 31, v10
	v_cndmask_b32_e32 v2, v3, v2, vcc
	v_cmp_ne_u32_e32 vcc, 0, v0
	v_cndmask_b32_e64 v0, 0, 1, vcc
	v_lshl_or_b32 v0, v0, 9, v3
	v_cmp_eq_u32_e32 vcc, s10, v10
	v_cndmask_b32_e32 v0, v2, v0, vcc
	v_lshrrev_b32_e32 v1, 16, v1
	v_and_or_b32 v0, v1, s11, v0
	v_and_or_b32 v1, v7, s4, v6
	v_cmp_ne_u32_e32 vcc, 0, v1
	v_cndmask_b32_e64 v1, 0, 1, vcc
	v_lshrrev_b32_e32 v2, 8, v7
	v_bfe_u32 v6, v7, 20, 11
	v_and_or_b32 v1, v2, s5, v1
	v_sub_u32_e32 v8, 0x3f1, v6
	v_or_b32_e32 v2, 0x1000, v1
	v_med3_i32 v8, v8, 0, 13
	v_lshrrev_b32_e32 v9, v8, v2
	v_lshlrev_b32_e32 v8, v8, v9
	v_cmp_ne_u32_e32 vcc, v8, v2
	v_cndmask_b32_e64 v2, 0, 1, vcc
	v_add_u32_e32 v6, 0xfffffc10, v6
	v_or_b32_e32 v2, v9, v2
	v_lshl_or_b32 v8, v6, 12, v1
	v_cmp_gt_i32_e32 vcc, 1, v6
	v_cndmask_b32_e32 v2, v8, v2, vcc
	v_and_b32_e32 v8, 7, v2
	v_cmp_lt_i32_e32 vcc, 5, v8
	v_cmp_eq_u32_e64 s[0:1], 3, v8
	v_lshrrev_b32_e32 v2, 2, v2
	s_or_b64 vcc, s[0:1], vcc
	v_addc_co_u32_e32 v2, vcc, 0, v2, vcc
	v_cmp_gt_i32_e32 vcc, 31, v6
	v_cndmask_b32_e32 v2, v3, v2, vcc
	v_cmp_ne_u32_e32 vcc, 0, v1
	v_cndmask_b32_e64 v1, 0, 1, vcc
	v_lshl_or_b32 v1, v1, 9, v3
	v_cmp_eq_u32_e32 vcc, s10, v6
	v_cndmask_b32_e32 v1, v2, v1, vcc
	v_lshrrev_b32_e32 v2, 16, v7
	v_and_or_b32 v1, v2, s11, v1
	v_and_b32_e32 v0, 0xffff, v0
	v_lshl_or_b32 v2, v1, 16, v0
	v_mov_b32_e32 v1, s6
	v_add_co_u32_e32 v0, vcc, s7, v4
	v_addc_co_u32_e32 v1, vcc, v5, v1, vcc
	global_store_dword v[0:1], v2, off
.LBB0_10:
	s_endpgm
	.section	.rodata,"a",@progbits
	.p2align	6, 0x0
	.amdhsa_kernel bluestein_single_fwd_len1445_dim1_half_op_CI_CI
		.amdhsa_group_segment_fixed_size 5780
		.amdhsa_private_segment_fixed_size 0
		.amdhsa_kernarg_size 104
		.amdhsa_user_sgpr_count 6
		.amdhsa_user_sgpr_private_segment_buffer 1
		.amdhsa_user_sgpr_dispatch_ptr 0
		.amdhsa_user_sgpr_queue_ptr 0
		.amdhsa_user_sgpr_kernarg_segment_ptr 1
		.amdhsa_user_sgpr_dispatch_id 0
		.amdhsa_user_sgpr_flat_scratch_init 0
		.amdhsa_user_sgpr_private_segment_size 0
		.amdhsa_uses_dynamic_stack 0
		.amdhsa_system_sgpr_private_segment_wavefront_offset 0
		.amdhsa_system_sgpr_workgroup_id_x 1
		.amdhsa_system_sgpr_workgroup_id_y 0
		.amdhsa_system_sgpr_workgroup_id_z 0
		.amdhsa_system_sgpr_workgroup_info 0
		.amdhsa_system_vgpr_workitem_id 0
		.amdhsa_next_free_vgpr 137
		.amdhsa_next_free_sgpr 34
		.amdhsa_reserve_vcc 1
		.amdhsa_reserve_flat_scratch 0
		.amdhsa_float_round_mode_32 0
		.amdhsa_float_round_mode_16_64 0
		.amdhsa_float_denorm_mode_32 3
		.amdhsa_float_denorm_mode_16_64 3
		.amdhsa_dx10_clamp 1
		.amdhsa_ieee_mode 1
		.amdhsa_fp16_overflow 0
		.amdhsa_exception_fp_ieee_invalid_op 0
		.amdhsa_exception_fp_denorm_src 0
		.amdhsa_exception_fp_ieee_div_zero 0
		.amdhsa_exception_fp_ieee_overflow 0
		.amdhsa_exception_fp_ieee_underflow 0
		.amdhsa_exception_fp_ieee_inexact 0
		.amdhsa_exception_int_div_zero 0
	.end_amdhsa_kernel
	.text
.Lfunc_end0:
	.size	bluestein_single_fwd_len1445_dim1_half_op_CI_CI, .Lfunc_end0-bluestein_single_fwd_len1445_dim1_half_op_CI_CI
                                        ; -- End function
	.section	.AMDGPU.csdata,"",@progbits
; Kernel info:
; codeLenInByte = 36872
; NumSgprs: 38
; NumVgprs: 137
; ScratchSize: 0
; MemoryBound: 0
; FloatMode: 240
; IeeeMode: 1
; LDSByteSize: 5780 bytes/workgroup (compile time only)
; SGPRBlocks: 4
; VGPRBlocks: 34
; NumSGPRsForWavesPerEU: 38
; NumVGPRsForWavesPerEU: 137
; Occupancy: 1
; WaveLimiterHint : 1
; COMPUTE_PGM_RSRC2:SCRATCH_EN: 0
; COMPUTE_PGM_RSRC2:USER_SGPR: 6
; COMPUTE_PGM_RSRC2:TRAP_HANDLER: 0
; COMPUTE_PGM_RSRC2:TGID_X_EN: 1
; COMPUTE_PGM_RSRC2:TGID_Y_EN: 0
; COMPUTE_PGM_RSRC2:TGID_Z_EN: 0
; COMPUTE_PGM_RSRC2:TIDIG_COMP_CNT: 0
	.type	__hip_cuid_62939ce2ae5ab6af,@object ; @__hip_cuid_62939ce2ae5ab6af
	.section	.bss,"aw",@nobits
	.globl	__hip_cuid_62939ce2ae5ab6af
__hip_cuid_62939ce2ae5ab6af:
	.byte	0                               ; 0x0
	.size	__hip_cuid_62939ce2ae5ab6af, 1

	.ident	"AMD clang version 19.0.0git (https://github.com/RadeonOpenCompute/llvm-project roc-6.4.0 25133 c7fe45cf4b819c5991fe208aaa96edf142730f1d)"
	.section	".note.GNU-stack","",@progbits
	.addrsig
	.addrsig_sym __hip_cuid_62939ce2ae5ab6af
	.amdgpu_metadata
---
amdhsa.kernels:
  - .args:
      - .actual_access:  read_only
        .address_space:  global
        .offset:         0
        .size:           8
        .value_kind:     global_buffer
      - .actual_access:  read_only
        .address_space:  global
        .offset:         8
        .size:           8
        .value_kind:     global_buffer
      - .actual_access:  read_only
        .address_space:  global
        .offset:         16
        .size:           8
        .value_kind:     global_buffer
      - .actual_access:  read_only
        .address_space:  global
        .offset:         24
        .size:           8
        .value_kind:     global_buffer
      - .actual_access:  read_only
        .address_space:  global
        .offset:         32
        .size:           8
        .value_kind:     global_buffer
      - .offset:         40
        .size:           8
        .value_kind:     by_value
      - .address_space:  global
        .offset:         48
        .size:           8
        .value_kind:     global_buffer
      - .address_space:  global
        .offset:         56
        .size:           8
        .value_kind:     global_buffer
      - .address_space:  global
        .offset:         64
        .size:           8
        .value_kind:     global_buffer
      - .address_space:  global
        .offset:         72
        .size:           8
        .value_kind:     global_buffer
      - .offset:         80
        .size:           4
        .value_kind:     by_value
      - .address_space:  global
        .offset:         88
        .size:           8
        .value_kind:     global_buffer
      - .address_space:  global
        .offset:         96
        .size:           8
        .value_kind:     global_buffer
    .group_segment_fixed_size: 5780
    .kernarg_segment_align: 8
    .kernarg_segment_size: 104
    .language:       OpenCL C
    .language_version:
      - 2
      - 0
    .max_flat_workgroup_size: 85
    .name:           bluestein_single_fwd_len1445_dim1_half_op_CI_CI
    .private_segment_fixed_size: 0
    .sgpr_count:     38
    .sgpr_spill_count: 0
    .symbol:         bluestein_single_fwd_len1445_dim1_half_op_CI_CI.kd
    .uniform_work_group_size: 1
    .uses_dynamic_stack: false
    .vgpr_count:     137
    .vgpr_spill_count: 0
    .wavefront_size: 64
amdhsa.target:   amdgcn-amd-amdhsa--gfx906
amdhsa.version:
  - 1
  - 2
...

	.end_amdgpu_metadata
